;; amdgpu-corpus repo=ROCm/rocFFT kind=compiled arch=gfx1201 opt=O3
	.text
	.amdgcn_target "amdgcn-amd-amdhsa--gfx1201"
	.amdhsa_code_object_version 6
	.protected	fft_rtc_back_len1872_factors_13_3_4_6_2_wgs_156_tpt_156_halfLds_dp_ip_CI_unitstride_sbrr_C2R_dirReg ; -- Begin function fft_rtc_back_len1872_factors_13_3_4_6_2_wgs_156_tpt_156_halfLds_dp_ip_CI_unitstride_sbrr_C2R_dirReg
	.globl	fft_rtc_back_len1872_factors_13_3_4_6_2_wgs_156_tpt_156_halfLds_dp_ip_CI_unitstride_sbrr_C2R_dirReg
	.p2align	8
	.type	fft_rtc_back_len1872_factors_13_3_4_6_2_wgs_156_tpt_156_halfLds_dp_ip_CI_unitstride_sbrr_C2R_dirReg,@function
fft_rtc_back_len1872_factors_13_3_4_6_2_wgs_156_tpt_156_halfLds_dp_ip_CI_unitstride_sbrr_C2R_dirReg: ; @fft_rtc_back_len1872_factors_13_3_4_6_2_wgs_156_tpt_156_halfLds_dp_ip_CI_unitstride_sbrr_C2R_dirReg
; %bb.0:
	s_clause 0x2
	s_load_b128 s[4:7], s[0:1], 0x0
	s_load_b64 s[8:9], s[0:1], 0x50
	s_load_b64 s[10:11], s[0:1], 0x18
	v_mul_u32_u24_e32 v1, 0x1a5, v0
	v_mov_b32_e32 v3, 0
	s_delay_alu instid0(VALU_DEP_2) | instskip(NEXT) | instid1(VALU_DEP_1)
	v_lshrrev_b32_e32 v1, 16, v1
	v_add_nc_u32_e32 v5, ttmp9, v1
	v_mov_b32_e32 v1, 0
	v_mov_b32_e32 v2, 0
	;; [unrolled: 1-line block ×3, first 2 shown]
	s_wait_kmcnt 0x0
	v_cmp_lt_u64_e64 s2, s[6:7], 2
	s_delay_alu instid0(VALU_DEP_1)
	s_and_b32 vcc_lo, exec_lo, s2
	s_cbranch_vccnz .LBB0_8
; %bb.1:
	s_load_b64 s[2:3], s[0:1], 0x10
	v_mov_b32_e32 v1, 0
	v_mov_b32_e32 v2, 0
	s_add_nc_u64 s[12:13], s[10:11], 8
	s_mov_b64 s[14:15], 1
	s_wait_kmcnt 0x0
	s_add_nc_u64 s[16:17], s[2:3], 8
	s_mov_b32 s3, 0
.LBB0_2:                                ; =>This Inner Loop Header: Depth=1
	s_load_b64 s[18:19], s[16:17], 0x0
                                        ; implicit-def: $vgpr7_vgpr8
	s_mov_b32 s2, exec_lo
	s_wait_kmcnt 0x0
	v_or_b32_e32 v4, s19, v6
	s_delay_alu instid0(VALU_DEP_1)
	v_cmpx_ne_u64_e32 0, v[3:4]
	s_wait_alu 0xfffe
	s_xor_b32 s20, exec_lo, s2
	s_cbranch_execz .LBB0_4
; %bb.3:                                ;   in Loop: Header=BB0_2 Depth=1
	s_cvt_f32_u32 s2, s18
	s_cvt_f32_u32 s21, s19
	s_sub_nc_u64 s[24:25], 0, s[18:19]
	s_wait_alu 0xfffe
	s_delay_alu instid0(SALU_CYCLE_1) | instskip(SKIP_1) | instid1(SALU_CYCLE_2)
	s_fmamk_f32 s2, s21, 0x4f800000, s2
	s_wait_alu 0xfffe
	v_s_rcp_f32 s2, s2
	s_delay_alu instid0(TRANS32_DEP_1) | instskip(SKIP_1) | instid1(SALU_CYCLE_2)
	s_mul_f32 s2, s2, 0x5f7ffffc
	s_wait_alu 0xfffe
	s_mul_f32 s21, s2, 0x2f800000
	s_wait_alu 0xfffe
	s_delay_alu instid0(SALU_CYCLE_2) | instskip(SKIP_1) | instid1(SALU_CYCLE_2)
	s_trunc_f32 s21, s21
	s_wait_alu 0xfffe
	s_fmamk_f32 s2, s21, 0xcf800000, s2
	s_cvt_u32_f32 s23, s21
	s_wait_alu 0xfffe
	s_delay_alu instid0(SALU_CYCLE_1) | instskip(SKIP_1) | instid1(SALU_CYCLE_2)
	s_cvt_u32_f32 s22, s2
	s_wait_alu 0xfffe
	s_mul_u64 s[26:27], s[24:25], s[22:23]
	s_wait_alu 0xfffe
	s_mul_hi_u32 s29, s22, s27
	s_mul_i32 s28, s22, s27
	s_mul_hi_u32 s2, s22, s26
	s_mul_i32 s30, s23, s26
	s_wait_alu 0xfffe
	s_add_nc_u64 s[28:29], s[2:3], s[28:29]
	s_mul_hi_u32 s21, s23, s26
	s_mul_hi_u32 s31, s23, s27
	s_add_co_u32 s2, s28, s30
	s_wait_alu 0xfffe
	s_add_co_ci_u32 s2, s29, s21
	s_mul_i32 s26, s23, s27
	s_add_co_ci_u32 s27, s31, 0
	s_wait_alu 0xfffe
	s_add_nc_u64 s[26:27], s[2:3], s[26:27]
	s_wait_alu 0xfffe
	v_add_co_u32 v4, s2, s22, s26
	s_delay_alu instid0(VALU_DEP_1) | instskip(SKIP_1) | instid1(VALU_DEP_1)
	s_cmp_lg_u32 s2, 0
	s_add_co_ci_u32 s23, s23, s27
	v_readfirstlane_b32 s22, v4
	s_wait_alu 0xfffe
	s_delay_alu instid0(VALU_DEP_1)
	s_mul_u64 s[24:25], s[24:25], s[22:23]
	s_wait_alu 0xfffe
	s_mul_hi_u32 s27, s22, s25
	s_mul_i32 s26, s22, s25
	s_mul_hi_u32 s2, s22, s24
	s_mul_i32 s28, s23, s24
	s_wait_alu 0xfffe
	s_add_nc_u64 s[26:27], s[2:3], s[26:27]
	s_mul_hi_u32 s21, s23, s24
	s_mul_hi_u32 s22, s23, s25
	s_wait_alu 0xfffe
	s_add_co_u32 s2, s26, s28
	s_add_co_ci_u32 s2, s27, s21
	s_mul_i32 s24, s23, s25
	s_add_co_ci_u32 s25, s22, 0
	s_wait_alu 0xfffe
	s_add_nc_u64 s[24:25], s[2:3], s[24:25]
	s_wait_alu 0xfffe
	v_add_co_u32 v4, s2, v4, s24
	s_delay_alu instid0(VALU_DEP_1) | instskip(SKIP_1) | instid1(VALU_DEP_1)
	s_cmp_lg_u32 s2, 0
	s_add_co_ci_u32 s2, s23, s25
	v_mul_hi_u32 v13, v5, v4
	s_wait_alu 0xfffe
	v_mad_co_u64_u32 v[7:8], null, v5, s2, 0
	v_mad_co_u64_u32 v[9:10], null, v6, v4, 0
	;; [unrolled: 1-line block ×3, first 2 shown]
	s_delay_alu instid0(VALU_DEP_3) | instskip(SKIP_1) | instid1(VALU_DEP_4)
	v_add_co_u32 v4, vcc_lo, v13, v7
	s_wait_alu 0xfffd
	v_add_co_ci_u32_e32 v7, vcc_lo, 0, v8, vcc_lo
	s_delay_alu instid0(VALU_DEP_2) | instskip(SKIP_1) | instid1(VALU_DEP_2)
	v_add_co_u32 v4, vcc_lo, v4, v9
	s_wait_alu 0xfffd
	v_add_co_ci_u32_e32 v4, vcc_lo, v7, v10, vcc_lo
	s_wait_alu 0xfffd
	v_add_co_ci_u32_e32 v7, vcc_lo, 0, v12, vcc_lo
	s_delay_alu instid0(VALU_DEP_2) | instskip(SKIP_1) | instid1(VALU_DEP_2)
	v_add_co_u32 v4, vcc_lo, v4, v11
	s_wait_alu 0xfffd
	v_add_co_ci_u32_e32 v9, vcc_lo, 0, v7, vcc_lo
	s_delay_alu instid0(VALU_DEP_2) | instskip(SKIP_1) | instid1(VALU_DEP_3)
	v_mul_lo_u32 v10, s19, v4
	v_mad_co_u64_u32 v[7:8], null, s18, v4, 0
	v_mul_lo_u32 v11, s18, v9
	s_delay_alu instid0(VALU_DEP_2) | instskip(NEXT) | instid1(VALU_DEP_2)
	v_sub_co_u32 v7, vcc_lo, v5, v7
	v_add3_u32 v8, v8, v11, v10
	s_delay_alu instid0(VALU_DEP_1) | instskip(SKIP_1) | instid1(VALU_DEP_1)
	v_sub_nc_u32_e32 v10, v6, v8
	s_wait_alu 0xfffd
	v_subrev_co_ci_u32_e64 v10, s2, s19, v10, vcc_lo
	v_add_co_u32 v11, s2, v4, 2
	s_wait_alu 0xf1ff
	v_add_co_ci_u32_e64 v12, s2, 0, v9, s2
	v_sub_co_u32 v13, s2, v7, s18
	v_sub_co_ci_u32_e32 v8, vcc_lo, v6, v8, vcc_lo
	s_wait_alu 0xf1ff
	v_subrev_co_ci_u32_e64 v10, s2, 0, v10, s2
	s_delay_alu instid0(VALU_DEP_3) | instskip(NEXT) | instid1(VALU_DEP_3)
	v_cmp_le_u32_e32 vcc_lo, s18, v13
	v_cmp_eq_u32_e64 s2, s19, v8
	s_wait_alu 0xfffd
	v_cndmask_b32_e64 v13, 0, -1, vcc_lo
	v_cmp_le_u32_e32 vcc_lo, s19, v10
	s_wait_alu 0xfffd
	v_cndmask_b32_e64 v14, 0, -1, vcc_lo
	v_cmp_le_u32_e32 vcc_lo, s18, v7
	;; [unrolled: 3-line block ×3, first 2 shown]
	s_wait_alu 0xfffd
	v_cndmask_b32_e64 v15, 0, -1, vcc_lo
	v_cmp_eq_u32_e32 vcc_lo, s19, v10
	s_wait_alu 0xf1ff
	s_delay_alu instid0(VALU_DEP_2)
	v_cndmask_b32_e64 v7, v15, v7, s2
	s_wait_alu 0xfffd
	v_cndmask_b32_e32 v10, v14, v13, vcc_lo
	v_add_co_u32 v13, vcc_lo, v4, 1
	s_wait_alu 0xfffd
	v_add_co_ci_u32_e32 v14, vcc_lo, 0, v9, vcc_lo
	s_delay_alu instid0(VALU_DEP_3) | instskip(SKIP_2) | instid1(VALU_DEP_3)
	v_cmp_ne_u32_e32 vcc_lo, 0, v10
	s_wait_alu 0xfffd
	v_cndmask_b32_e32 v10, v13, v11, vcc_lo
	v_cndmask_b32_e32 v8, v14, v12, vcc_lo
	v_cmp_ne_u32_e32 vcc_lo, 0, v7
	s_wait_alu 0xfffd
	s_delay_alu instid0(VALU_DEP_2)
	v_dual_cndmask_b32 v7, v4, v10 :: v_dual_cndmask_b32 v8, v9, v8
.LBB0_4:                                ;   in Loop: Header=BB0_2 Depth=1
	s_wait_alu 0xfffe
	s_and_not1_saveexec_b32 s2, s20
	s_cbranch_execz .LBB0_6
; %bb.5:                                ;   in Loop: Header=BB0_2 Depth=1
	v_cvt_f32_u32_e32 v4, s18
	s_sub_co_i32 s20, 0, s18
	s_delay_alu instid0(VALU_DEP_1) | instskip(NEXT) | instid1(TRANS32_DEP_1)
	v_rcp_iflag_f32_e32 v4, v4
	v_mul_f32_e32 v4, 0x4f7ffffe, v4
	s_delay_alu instid0(VALU_DEP_1) | instskip(SKIP_1) | instid1(VALU_DEP_1)
	v_cvt_u32_f32_e32 v4, v4
	s_wait_alu 0xfffe
	v_mul_lo_u32 v7, s20, v4
	s_delay_alu instid0(VALU_DEP_1) | instskip(NEXT) | instid1(VALU_DEP_1)
	v_mul_hi_u32 v7, v4, v7
	v_add_nc_u32_e32 v4, v4, v7
	s_delay_alu instid0(VALU_DEP_1) | instskip(NEXT) | instid1(VALU_DEP_1)
	v_mul_hi_u32 v4, v5, v4
	v_mul_lo_u32 v7, v4, s18
	v_add_nc_u32_e32 v8, 1, v4
	s_delay_alu instid0(VALU_DEP_2) | instskip(NEXT) | instid1(VALU_DEP_1)
	v_sub_nc_u32_e32 v7, v5, v7
	v_subrev_nc_u32_e32 v9, s18, v7
	v_cmp_le_u32_e32 vcc_lo, s18, v7
	s_wait_alu 0xfffd
	s_delay_alu instid0(VALU_DEP_2) | instskip(NEXT) | instid1(VALU_DEP_1)
	v_dual_cndmask_b32 v7, v7, v9 :: v_dual_cndmask_b32 v4, v4, v8
	v_cmp_le_u32_e32 vcc_lo, s18, v7
	s_delay_alu instid0(VALU_DEP_2) | instskip(SKIP_1) | instid1(VALU_DEP_1)
	v_add_nc_u32_e32 v8, 1, v4
	s_wait_alu 0xfffd
	v_dual_cndmask_b32 v7, v4, v8 :: v_dual_mov_b32 v8, v3
.LBB0_6:                                ;   in Loop: Header=BB0_2 Depth=1
	s_wait_alu 0xfffe
	s_or_b32 exec_lo, exec_lo, s2
	s_load_b64 s[20:21], s[12:13], 0x0
	s_delay_alu instid0(VALU_DEP_1)
	v_mul_lo_u32 v4, v8, s18
	v_mul_lo_u32 v11, v7, s19
	v_mad_co_u64_u32 v[9:10], null, v7, s18, 0
	s_add_nc_u64 s[14:15], s[14:15], 1
	s_add_nc_u64 s[12:13], s[12:13], 8
	s_wait_alu 0xfffe
	v_cmp_ge_u64_e64 s2, s[14:15], s[6:7]
	s_add_nc_u64 s[16:17], s[16:17], 8
	s_delay_alu instid0(VALU_DEP_2) | instskip(NEXT) | instid1(VALU_DEP_3)
	v_add3_u32 v4, v10, v11, v4
	v_sub_co_u32 v5, vcc_lo, v5, v9
	s_wait_alu 0xfffd
	s_delay_alu instid0(VALU_DEP_2) | instskip(SKIP_3) | instid1(VALU_DEP_2)
	v_sub_co_ci_u32_e32 v4, vcc_lo, v6, v4, vcc_lo
	s_and_b32 vcc_lo, exec_lo, s2
	s_wait_kmcnt 0x0
	v_mul_lo_u32 v6, s21, v5
	v_mul_lo_u32 v4, s20, v4
	v_mad_co_u64_u32 v[1:2], null, s20, v5, v[1:2]
	s_delay_alu instid0(VALU_DEP_1)
	v_add3_u32 v2, v6, v2, v4
	s_wait_alu 0xfffe
	s_cbranch_vccnz .LBB0_9
; %bb.7:                                ;   in Loop: Header=BB0_2 Depth=1
	v_dual_mov_b32 v5, v7 :: v_dual_mov_b32 v6, v8
	s_branch .LBB0_2
.LBB0_8:
	v_dual_mov_b32 v8, v6 :: v_dual_mov_b32 v7, v5
.LBB0_9:
	s_lshl_b64 s[2:3], s[6:7], 3
	v_mul_hi_u32 v3, 0x1a41a42, v0
	s_wait_alu 0xfffe
	s_add_nc_u64 s[2:3], s[10:11], s[2:3]
	s_load_b64 s[2:3], s[2:3], 0x0
	s_load_b64 s[0:1], s[0:1], 0x20
	s_delay_alu instid0(VALU_DEP_1)
	v_mul_u32_u24_e32 v3, 0x9c, v3
	s_wait_kmcnt 0x0
	v_mul_lo_u32 v4, s2, v8
	v_mul_lo_u32 v5, s3, v7
	v_mad_co_u64_u32 v[1:2], null, s2, v7, v[1:2]
	v_cmp_gt_u64_e32 vcc_lo, s[0:1], v[7:8]
	s_delay_alu instid0(VALU_DEP_2) | instskip(SKIP_2) | instid1(VALU_DEP_3)
	v_add3_u32 v2, v5, v2, v4
	v_sub_nc_u32_e32 v4, v0, v3
	v_mov_b32_e32 v5, 0
	v_lshlrev_b64_e32 v[54:55], 4, v[1:2]
	s_delay_alu instid0(VALU_DEP_3)
	v_mov_b32_e32 v52, v4
	s_and_saveexec_b32 s1, vcc_lo
	s_cbranch_execz .LBB0_13
; %bb.10:
	v_lshlrev_b64_e32 v[2:3], 4, v[4:5]
	s_delay_alu instid0(VALU_DEP_3) | instskip(SKIP_3) | instid1(VALU_DEP_3)
	v_add_co_u32 v0, s0, s8, v54
	s_wait_alu 0xf1ff
	v_add_co_ci_u32_e64 v1, s0, s9, v55, s0
	v_lshl_add_u32 v56, v4, 4, 0
	v_add_co_u32 v2, s0, v0, v2
	s_wait_alu 0xf1ff
	s_delay_alu instid0(VALU_DEP_3)
	v_add_co_ci_u32_e64 v3, s0, v1, v3, s0
	s_mov_b32 s2, exec_lo
	s_clause 0xb
	global_load_b128 v[6:9], v[2:3], off
	global_load_b128 v[10:13], v[2:3], off offset:2496
	global_load_b128 v[14:17], v[2:3], off offset:4992
	;; [unrolled: 1-line block ×11, first 2 shown]
	v_dual_mov_b32 v2, v4 :: v_dual_mov_b32 v3, v5
	s_wait_loadcnt 0xb
	ds_store_b128 v56, v[6:9]
	s_wait_loadcnt 0xa
	ds_store_b128 v56, v[10:13] offset:2496
	s_wait_loadcnt 0x9
	ds_store_b128 v56, v[14:17] offset:4992
	;; [unrolled: 2-line block ×11, first 2 shown]
	v_cmpx_eq_u32_e32 0x9b, v4
	s_cbranch_execz .LBB0_12
; %bb.11:
	global_load_b128 v[5:8], v[0:1], off offset:29952
	v_mov_b32_e32 v2, 0x9b
	v_dual_mov_b32 v0, 0 :: v_dual_mov_b32 v3, 0
	v_mov_b32_e32 v4, 0x9b
	s_wait_loadcnt 0x0
	ds_store_b128 v0, v[5:8] offset:29952
.LBB0_12:
	s_wait_alu 0xfffe
	s_or_b32 exec_lo, exec_lo, s2
	v_dual_mov_b32 v52, v4 :: v_dual_mov_b32 v5, v3
	v_mov_b32_e32 v4, v2
.LBB0_13:
	s_wait_alu 0xfffe
	s_or_b32 exec_lo, exec_lo, s1
	s_delay_alu instid0(VALU_DEP_1)
	v_lshlrev_b32_e32 v0, 4, v52
	global_wb scope:SCOPE_SE
	s_wait_dscnt 0x0
	s_barrier_signal -1
	s_barrier_wait -1
	global_inv scope:SCOPE_SE
	v_add_nc_u32_e32 v84, 0, v0
	v_sub_nc_u32_e32 v10, 0, v0
	v_lshlrev_b64_e32 v[56:57], 4, v[4:5]
	s_mov_b32 s1, exec_lo
	ds_load_b64 v[6:7], v84
	ds_load_b64 v[8:9], v10 offset:29952
	s_wait_dscnt 0x0
	v_add_f64_e32 v[0:1], v[6:7], v[8:9]
	v_add_f64_e64 v[2:3], v[6:7], -v[8:9]
	v_cmpx_ne_u32_e32 0, v52
	s_wait_alu 0xfffe
	s_xor_b32 s1, exec_lo, s1
	s_cbranch_execz .LBB0_15
; %bb.14:
	v_add_co_u32 v0, s0, s4, v56
	s_wait_alu 0xf1ff
	v_add_co_ci_u32_e64 v1, s0, s5, v57, s0
	v_add_f64_e32 v[13:14], v[6:7], v[8:9]
	v_add_f64_e64 v[8:9], v[6:7], -v[8:9]
	global_load_b128 v[2:5], v[0:1], off offset:29744
	ds_load_b64 v[0:1], v10 offset:29960
	ds_load_b64 v[11:12], v84 offset:8
	s_wait_dscnt 0x0
	v_add_f64_e32 v[6:7], v[0:1], v[11:12]
	v_add_f64_e64 v[0:1], v[11:12], -v[0:1]
	s_wait_loadcnt 0x0
	v_fma_f64 v[11:12], v[8:9], v[4:5], v[13:14]
	v_fma_f64 v[13:14], -v[8:9], v[4:5], v[13:14]
	s_delay_alu instid0(VALU_DEP_3) | instskip(SKIP_1) | instid1(VALU_DEP_4)
	v_fma_f64 v[15:16], v[6:7], v[4:5], -v[0:1]
	v_fma_f64 v[17:18], v[6:7], v[4:5], v[0:1]
	v_fma_f64 v[0:1], -v[6:7], v[2:3], v[11:12]
	s_delay_alu instid0(VALU_DEP_4) | instskip(NEXT) | instid1(VALU_DEP_4)
	v_fma_f64 v[4:5], v[6:7], v[2:3], v[13:14]
	v_fma_f64 v[6:7], v[8:9], v[2:3], v[15:16]
	s_delay_alu instid0(VALU_DEP_4)
	v_fma_f64 v[2:3], v[8:9], v[2:3], v[17:18]
	ds_store_b128 v10, v[4:7] offset:29952
.LBB0_15:
	s_wait_alu 0xfffe
	s_and_not1_saveexec_b32 s0, s1
	s_cbranch_execz .LBB0_17
; %bb.16:
	v_mov_b32_e32 v8, 0
	ds_load_b128 v[4:7], v8 offset:14976
	s_wait_dscnt 0x0
	v_add_f64_e32 v[4:5], v[4:5], v[4:5]
	v_mul_f64_e32 v[6:7], -2.0, v[6:7]
	ds_store_b128 v8, v[4:7] offset:14976
.LBB0_17:
	s_wait_alu 0xfffe
	s_or_b32 exec_lo, exec_lo, s0
	v_mov_b32_e32 v53, 0
	s_add_nc_u64 s[0:1], s[4:5], 0x7430
	s_mov_b32 s33, exec_lo
	s_delay_alu instid0(VALU_DEP_1) | instskip(SKIP_1) | instid1(VALU_DEP_1)
	v_lshlrev_b64_e32 v[58:59], 4, v[52:53]
	s_wait_alu 0xfffe
	v_add_co_u32 v23, s0, s0, v58
	s_wait_alu 0xf1ff
	s_delay_alu instid0(VALU_DEP_2)
	v_add_co_ci_u32_e64 v24, s0, s1, v59, s0
	s_clause 0x1
	global_load_b128 v[4:7], v[23:24], off offset:2496
	global_load_b128 v[11:14], v[23:24], off offset:4992
	ds_store_b128 v84, v[0:3]
	ds_load_b128 v[0:3], v84 offset:2496
	ds_load_b128 v[15:18], v10 offset:27456
	global_load_b128 v[19:22], v[23:24], off offset:7488
	s_wait_dscnt 0x0
	v_add_f64_e32 v[8:9], v[0:1], v[15:16]
	v_add_f64_e32 v[25:26], v[17:18], v[2:3]
	v_add_f64_e64 v[15:16], v[0:1], -v[15:16]
	v_add_f64_e64 v[0:1], v[2:3], -v[17:18]
	s_wait_loadcnt 0x2
	s_delay_alu instid0(VALU_DEP_2) | instskip(NEXT) | instid1(VALU_DEP_2)
	v_fma_f64 v[2:3], v[15:16], v[6:7], v[8:9]
	v_fma_f64 v[17:18], v[25:26], v[6:7], v[0:1]
	v_fma_f64 v[8:9], -v[15:16], v[6:7], v[8:9]
	v_fma_f64 v[27:28], v[25:26], v[6:7], -v[0:1]
	s_delay_alu instid0(VALU_DEP_4) | instskip(NEXT) | instid1(VALU_DEP_4)
	v_fma_f64 v[0:1], -v[25:26], v[4:5], v[2:3]
	v_fma_f64 v[2:3], v[15:16], v[4:5], v[17:18]
	s_delay_alu instid0(VALU_DEP_4) | instskip(NEXT) | instid1(VALU_DEP_4)
	v_fma_f64 v[6:7], v[25:26], v[4:5], v[8:9]
	v_fma_f64 v[8:9], v[15:16], v[4:5], v[27:28]
	ds_store_b128 v84, v[0:3] offset:2496
	ds_store_b128 v10, v[6:9] offset:27456
	ds_load_b128 v[0:3], v84 offset:4992
	ds_load_b128 v[4:7], v10 offset:24960
	global_load_b128 v[15:18], v[23:24], off offset:9984
	s_wait_dscnt 0x0
	v_add_f64_e32 v[8:9], v[0:1], v[4:5]
	v_add_f64_e32 v[25:26], v[6:7], v[2:3]
	v_add_f64_e64 v[27:28], v[0:1], -v[4:5]
	v_add_f64_e64 v[0:1], v[2:3], -v[6:7]
	s_wait_loadcnt 0x2
	s_delay_alu instid0(VALU_DEP_2) | instskip(NEXT) | instid1(VALU_DEP_2)
	v_fma_f64 v[2:3], v[27:28], v[13:14], v[8:9]
	v_fma_f64 v[4:5], v[25:26], v[13:14], v[0:1]
	v_fma_f64 v[6:7], -v[27:28], v[13:14], v[8:9]
	v_fma_f64 v[8:9], v[25:26], v[13:14], -v[0:1]
	s_delay_alu instid0(VALU_DEP_4) | instskip(NEXT) | instid1(VALU_DEP_4)
	v_fma_f64 v[0:1], -v[25:26], v[11:12], v[2:3]
	v_fma_f64 v[2:3], v[27:28], v[11:12], v[4:5]
	s_delay_alu instid0(VALU_DEP_4) | instskip(NEXT) | instid1(VALU_DEP_4)
	v_fma_f64 v[4:5], v[25:26], v[11:12], v[6:7]
	v_fma_f64 v[6:7], v[27:28], v[11:12], v[8:9]
	ds_store_b128 v84, v[0:3] offset:4992
	ds_store_b128 v10, v[4:7] offset:24960
	;; [unrolled: 22-line block ×3, first 2 shown]
	ds_load_b128 v[0:3], v84 offset:9984
	ds_load_b128 v[4:7], v10 offset:19968
	s_wait_dscnt 0x0
	v_add_f64_e32 v[8:9], v[0:1], v[4:5]
	v_add_f64_e32 v[19:20], v[6:7], v[2:3]
	v_add_f64_e64 v[21:22], v[0:1], -v[4:5]
	v_add_f64_e64 v[0:1], v[2:3], -v[6:7]
	s_wait_loadcnt 0x1
	s_delay_alu instid0(VALU_DEP_2) | instskip(NEXT) | instid1(VALU_DEP_2)
	v_fma_f64 v[2:3], v[21:22], v[17:18], v[8:9]
	v_fma_f64 v[4:5], v[19:20], v[17:18], v[0:1]
	v_fma_f64 v[6:7], -v[21:22], v[17:18], v[8:9]
	v_fma_f64 v[8:9], v[19:20], v[17:18], -v[0:1]
	s_delay_alu instid0(VALU_DEP_4) | instskip(NEXT) | instid1(VALU_DEP_4)
	v_fma_f64 v[0:1], -v[19:20], v[15:16], v[2:3]
	v_fma_f64 v[2:3], v[21:22], v[15:16], v[4:5]
	s_delay_alu instid0(VALU_DEP_4) | instskip(NEXT) | instid1(VALU_DEP_4)
	v_fma_f64 v[4:5], v[19:20], v[15:16], v[6:7]
	v_fma_f64 v[6:7], v[21:22], v[15:16], v[8:9]
	ds_store_b128 v84, v[0:3] offset:9984
	ds_store_b128 v10, v[4:7] offset:19968
	ds_load_b128 v[0:3], v84 offset:12480
	ds_load_b128 v[4:7], v10 offset:17472
	s_wait_dscnt 0x0
	v_add_f64_e32 v[8:9], v[0:1], v[4:5]
	v_add_f64_e32 v[15:16], v[6:7], v[2:3]
	v_add_f64_e64 v[17:18], v[0:1], -v[4:5]
	v_add_f64_e64 v[0:1], v[2:3], -v[6:7]
	s_wait_loadcnt 0x0
	s_delay_alu instid0(VALU_DEP_2) | instskip(NEXT) | instid1(VALU_DEP_2)
	v_fma_f64 v[2:3], v[17:18], v[13:14], v[8:9]
	v_fma_f64 v[4:5], v[15:16], v[13:14], v[0:1]
	v_fma_f64 v[6:7], -v[17:18], v[13:14], v[8:9]
	v_fma_f64 v[8:9], v[15:16], v[13:14], -v[0:1]
	s_delay_alu instid0(VALU_DEP_4) | instskip(NEXT) | instid1(VALU_DEP_4)
	v_fma_f64 v[0:1], -v[15:16], v[11:12], v[2:3]
	v_fma_f64 v[2:3], v[17:18], v[11:12], v[4:5]
	s_delay_alu instid0(VALU_DEP_4) | instskip(NEXT) | instid1(VALU_DEP_4)
	v_fma_f64 v[4:5], v[15:16], v[11:12], v[6:7]
	v_fma_f64 v[6:7], v[17:18], v[11:12], v[8:9]
	ds_store_b128 v84, v[0:3] offset:12480
	ds_store_b128 v10, v[4:7] offset:17472
	global_wb scope:SCOPE_SE
	s_wait_dscnt 0x0
	s_barrier_signal -1
	s_barrier_wait -1
	global_inv scope:SCOPE_SE
	global_wb scope:SCOPE_SE
	s_barrier_signal -1
	s_barrier_wait -1
	global_inv scope:SCOPE_SE
	ds_load_b128 v[16:19], v84
	ds_load_b128 v[48:51], v84 offset:2304
	ds_load_b128 v[36:39], v84 offset:4608
	;; [unrolled: 1-line block ×12, first 2 shown]
	global_wb scope:SCOPE_SE
	s_wait_dscnt 0x0
	s_barrier_signal -1
	s_barrier_wait -1
	global_inv scope:SCOPE_SE
	v_cmpx_gt_u32_e32 0x90, v52
	s_cbranch_execz .LBB0_19
; %bb.18:
	v_add_f64_e32 v[60:61], v[18:19], v[50:51]
	v_add_f64_e32 v[62:63], v[16:17], v[48:49]
	v_add_f64_e64 v[85:86], v[36:37], -v[4:5]
	v_add_f64_e64 v[82:83], v[38:39], -v[6:7]
	;; [unrolled: 1-line block ×10, first 2 shown]
	s_mov_b32 s31, 0x3fddbe06
	s_mov_b32 s30, 0x4267c47c
	;; [unrolled: 1-line block ×14, first 2 shown]
	s_wait_alu 0xfffe
	s_mov_b32 s26, s6
	s_mov_b32 s28, s22
	v_add_f64_e32 v[78:79], v[50:51], v[2:3]
	v_add_f64_e32 v[80:81], v[48:49], v[0:1]
	;; [unrolled: 1-line block ×4, first 2 shown]
	s_mov_b32 s24, 0xebaa3ed8
	s_mov_b32 s18, 0xb2365da1
	;; [unrolled: 1-line block ×6, first 2 shown]
	v_add_f64_e32 v[60:61], v[60:61], v[38:39]
	v_add_f64_e32 v[62:63], v[62:63], v[36:37]
	v_mul_f64_e32 v[97:98], s[30:31], v[85:86]
	v_mul_f64_e32 v[99:100], s[30:31], v[82:83]
	;; [unrolled: 1-line block ×15, first 2 shown]
	s_wait_alu 0xfffe
	v_mul_f64_e32 v[131:132], s[26:27], v[91:92]
	s_mov_b32 s25, 0x3fbedb7d
	s_mov_b32 s19, 0xbfd6b1d8
	;; [unrolled: 1-line block ×10, first 2 shown]
	v_add_f64_e32 v[38:39], v[38:39], v[6:7]
	v_add_f64_e32 v[36:37], v[36:37], v[4:5]
	v_mul_f64_e32 v[133:134], s[22:23], v[85:86]
	v_mul_f64_e32 v[135:136], s[34:35], v[85:86]
	v_mul_f64_e32 v[137:138], s[0:1], v[85:86]
	v_mul_f64_e32 v[139:140], s[20:21], v[85:86]
	v_mul_f64_e32 v[85:86], s[26:27], v[85:86]
	v_mul_f64_e32 v[141:142], s[22:23], v[82:83]
	v_mul_f64_e32 v[143:144], s[34:35], v[82:83]
	v_mul_f64_e32 v[145:146], s[0:1], v[82:83]
	v_add_f64_e32 v[68:69], v[60:61], v[42:43]
	v_add_f64_e32 v[70:71], v[62:63], v[40:41]
	v_add_f64_e64 v[62:63], v[28:29], -v[24:25]
	v_add_f64_e64 v[60:61], v[30:31], -v[26:27]
	v_add_f64_e32 v[42:43], v[42:43], v[10:11]
	v_mul_f64_e32 v[147:148], s[20:21], v[82:83]
	v_mul_f64_e32 v[82:83], s[26:27], v[82:83]
	;; [unrolled: 1-line block ×7, first 2 shown]
	v_fma_f64 v[157:158], v[78:79], s[10:11], v[101:102]
	v_fma_f64 v[101:102], v[78:79], s[10:11], -v[101:102]
	v_fma_f64 v[159:160], v[78:79], s[12:13], v[105:106]
	v_fma_f64 v[105:106], v[78:79], s[12:13], -v[105:106]
	s_wait_alu 0xfffe
	v_fma_f64 v[161:162], v[78:79], s[18:19], v[109:110]
	v_fma_f64 v[109:110], v[78:79], s[18:19], -v[109:110]
	v_fma_f64 v[163:164], v[78:79], s[24:25], v[113:114]
	v_fma_f64 v[113:114], v[78:79], s[24:25], -v[113:114]
	v_fma_f64 v[165:166], v[80:81], s[12:13], -v[121:122]
	v_fma_f64 v[121:122], v[80:81], s[12:13], v[121:122]
	v_fma_f64 v[167:168], v[80:81], s[18:19], -v[125:126]
	v_fma_f64 v[125:126], v[80:81], s[18:19], v[125:126]
	;; [unrolled: 2-line block ×4, first 2 shown]
	v_add_f64_e32 v[40:41], v[40:41], v[8:9]
	v_fma_f64 v[173:174], v[38:39], s[14:15], v[97:98]
	v_fma_f64 v[97:98], v[38:39], s[14:15], -v[97:98]
	v_fma_f64 v[175:176], v[38:39], s[24:25], v[133:134]
	v_fma_f64 v[133:134], v[38:39], s[24:25], -v[133:134]
	;; [unrolled: 2-line block ×4, first 2 shown]
	v_fma_f64 v[181:182], v[38:39], s[18:19], v[139:140]
	v_add_f64_e32 v[93:94], v[68:69], v[46:47]
	v_add_f64_e32 v[95:96], v[70:71], v[44:45]
	;; [unrolled: 1-line block ×4, first 2 shown]
	v_mul_f64_e32 v[123:124], s[30:31], v[62:63]
	v_mul_f64_e32 v[127:128], s[30:31], v[60:61]
	s_mov_b32 s31, 0xbfddbe06
	v_fma_f64 v[139:140], v[38:39], s[18:19], -v[139:140]
	v_fma_f64 v[183:184], v[38:39], s[16:17], v[85:86]
	v_fma_f64 v[38:39], v[38:39], s[16:17], -v[85:86]
	v_fma_f64 v[85:86], v[36:37], s[14:15], -v[99:100]
	v_fma_f64 v[99:100], v[36:37], s[14:15], v[99:100]
	v_fma_f64 v[185:186], v[36:37], s[24:25], -v[141:142]
	v_fma_f64 v[141:142], v[36:37], s[24:25], v[141:142]
	v_fma_f64 v[191:192], v[42:43], s[16:17], v[151:152]
	v_fma_f64 v[151:152], v[42:43], s[16:17], -v[151:152]
	v_add_f64_e32 v[157:158], v[18:19], v[157:158]
	v_add_f64_e32 v[101:102], v[18:19], v[101:102]
	;; [unrolled: 1-line block ×16, first 2 shown]
	v_mul_f64_e32 v[193:194], s[26:27], v[76:77]
	v_mul_f64_e32 v[195:196], s[36:37], v[76:77]
	;; [unrolled: 1-line block ×3, first 2 shown]
	v_add_f64_e32 v[46:47], v[46:47], v[14:15]
	v_add_f64_e32 v[44:45], v[44:45], v[12:13]
	v_fma_f64 v[203:204], v[40:41], s[14:15], -v[115:116]
	v_add_f64_e32 v[34:35], v[93:94], v[34:35]
	v_add_f64_e32 v[32:33], v[95:96], v[32:33]
	v_mul_f64_e32 v[93:94], s[0:1], v[91:92]
	v_mul_f64_e32 v[95:96], s[26:27], v[87:88]
	s_wait_alu 0xfffe
	v_mul_f64_e32 v[87:88], s[30:31], v[87:88]
	v_mul_f64_e32 v[91:92], s[30:31], v[91:92]
	s_mov_b32 s31, 0x3fcea1e5
	s_mov_b32 s30, s0
	v_fma_f64 v[115:116], v[40:41], s[14:15], v[115:116]
	v_mad_u32_u24 v53, 0xc0, v52, v84
	v_add_f64_e32 v[109:110], v[135:136], v[109:110]
	s_wait_alu 0xfffe
	v_mul_f64_e32 v[135:136], s[30:31], v[74:75]
	v_add_f64_e32 v[113:114], v[137:138], v[113:114]
	v_mul_f64_e32 v[137:138], s[20:21], v[66:67]
	v_fma_f64 v[201:202], v[40:41], s[16:17], -v[193:194]
	v_fma_f64 v[193:194], v[40:41], s[16:17], v[193:194]
	v_fma_f64 v[205:206], v[40:41], s[18:19], -v[195:196]
	v_fma_f64 v[195:196], v[40:41], s[18:19], v[195:196]
	;; [unrolled: 2-line block ×3, first 2 shown]
	v_add_f64_e32 v[30:31], v[34:35], v[30:31]
	v_add_f64_e32 v[28:29], v[32:33], v[28:29]
	v_fma_f64 v[32:33], v[80:81], s[10:11], -v[93:94]
	v_fma_f64 v[34:35], v[78:79], s[16:17], v[95:96]
	v_fma_f64 v[93:94], v[80:81], s[10:11], v[93:94]
	v_fma_f64 v[95:96], v[78:79], s[16:17], -v[95:96]
	v_fma_f64 v[187:188], v[78:79], s[14:15], v[87:88]
	v_fma_f64 v[189:190], v[80:81], s[14:15], -v[91:92]
	v_fma_f64 v[78:79], v[78:79], s[14:15], -v[87:88]
	v_fma_f64 v[80:81], v[80:81], s[14:15], v[91:92]
	v_fma_f64 v[87:88], v[36:37], s[12:13], -v[143:144]
	v_fma_f64 v[91:92], v[36:37], s[12:13], v[143:144]
	;; [unrolled: 2-line block ×3, first 2 shown]
	v_add_f64_e32 v[26:27], v[30:31], v[26:27]
	v_add_f64_e32 v[24:25], v[28:29], v[24:25]
	v_fma_f64 v[28:29], v[36:37], s[18:19], -v[147:148]
	v_fma_f64 v[30:31], v[36:37], s[18:19], v[147:148]
	v_fma_f64 v[147:148], v[36:37], s[16:17], -v[82:83]
	v_fma_f64 v[36:37], v[36:37], s[16:17], v[82:83]
	v_fma_f64 v[82:83], v[42:43], s[12:13], v[149:150]
	v_fma_f64 v[149:150], v[42:43], s[12:13], -v[149:150]
	v_add_f64_e32 v[32:33], v[16:17], v[32:33]
	v_add_f64_e32 v[93:94], v[16:17], v[93:94]
	;; [unrolled: 1-line block ×8, first 2 shown]
	v_fma_f64 v[78:79], v[42:43], s[14:15], v[111:112]
	v_fma_f64 v[80:81], v[42:43], s[14:15], -v[111:112]
	v_fma_f64 v[111:112], v[42:43], s[18:19], v[153:154]
	v_fma_f64 v[153:154], v[42:43], s[18:19], -v[153:154]
	v_add_f64_e32 v[91:92], v[91:92], v[125:126]
	v_mul_f64_e32 v[125:126], s[30:31], v[72:73]
	v_add_f64_e32 v[87:88], v[87:88], v[167:168]
	v_add_f64_e32 v[143:144], v[143:144], v[169:170]
	;; [unrolled: 1-line block ×3, first 2 shown]
	v_mul_f64_e32 v[145:146], s[34:35], v[74:75]
	v_mul_f64_e32 v[169:170], s[26:27], v[66:67]
	v_add_f64_e32 v[22:23], v[26:27], v[22:23]
	v_add_f64_e32 v[20:21], v[24:25], v[20:21]
	v_fma_f64 v[24:25], v[42:43], s[10:11], v[155:156]
	v_fma_f64 v[26:27], v[42:43], s[10:11], -v[155:156]
	v_fma_f64 v[155:156], v[42:43], s[24:25], v[89:90]
	v_fma_f64 v[42:43], v[42:43], s[24:25], -v[89:90]
	v_mul_f64_e32 v[89:90], s[2:3], v[76:77]
	v_mul_f64_e32 v[76:77], s[28:29], v[76:77]
	v_add_f64_e32 v[32:33], v[85:86], v[32:33]
	v_add_f64_e32 v[85:86], v[97:98], v[101:102]
	;; [unrolled: 1-line block ×6, first 2 shown]
	v_mul_f64_e32 v[133:134], s[6:7], v[74:75]
	v_mul_f64_e32 v[141:142], s[6:7], v[72:73]
	v_add_f64_e32 v[99:100], v[185:186], v[165:166]
	v_add_f64_e32 v[121:122], v[177:178], v[161:162]
	v_mul_f64_e32 v[159:160], s[28:29], v[74:75]
	v_mul_f64_e32 v[161:162], s[28:29], v[72:73]
	v_add_f64_e32 v[34:35], v[181:182], v[34:35]
	v_add_f64_e32 v[28:29], v[28:29], v[171:172]
	;; [unrolled: 4-line block ×3, first 2 shown]
	v_add_f64_e32 v[167:168], v[183:184], v[187:188]
	v_mul_f64_e32 v[72:73], s[20:21], v[72:73]
	v_add_f64_e32 v[147:148], v[147:148], v[189:190]
	v_add_f64_e32 v[18:19], v[38:39], v[18:19]
	v_fma_f64 v[175:176], v[44:45], s[10:11], -v[125:126]
	v_add_f64_e32 v[16:17], v[36:37], v[16:17]
	v_mul_f64_e32 v[139:140], s[30:31], v[66:67]
	v_mul_f64_e32 v[131:132], s[30:31], v[64:65]
	;; [unrolled: 1-line block ×4, first 2 shown]
	v_fma_f64 v[125:126], v[44:45], s[10:11], v[125:126]
	v_add_f64_e32 v[87:88], v[203:204], v[87:88]
	v_add_f64_e32 v[80:81], v[80:81], v[109:110]
	;; [unrolled: 1-line block ×3, first 2 shown]
	v_fma_f64 v[115:116], v[70:71], s[14:15], v[103:104]
	v_add_f64_e32 v[143:144], v[205:206], v[143:144]
	v_add_f64_e32 v[113:114], v[153:154], v[113:114]
	;; [unrolled: 1-line block ×3, first 2 shown]
	v_fma_f64 v[199:200], v[40:41], s[12:13], -v[89:90]
	v_fma_f64 v[89:90], v[40:41], s[12:13], v[89:90]
	v_fma_f64 v[209:210], v[40:41], s[24:25], -v[76:77]
	v_fma_f64 v[40:41], v[40:41], s[24:25], v[76:77]
	v_add_f64_e32 v[76:77], v[173:174], v[157:158]
	v_add_f64_e32 v[157:158], v[179:180], v[163:164]
	v_mul_f64_e32 v[163:164], s[20:21], v[64:65]
	v_add_f64_e32 v[85:86], v[149:150], v[85:86]
	v_fma_f64 v[173:174], v[46:47], s[16:17], v[133:134]
	v_fma_f64 v[149:150], v[44:45], s[16:17], -v[141:142]
	v_fma_f64 v[133:134], v[46:47], s[16:17], -v[133:134]
	v_fma_f64 v[141:142], v[44:45], s[16:17], v[141:142]
	v_add_f64_e32 v[97:98], v[191:192], v[97:98]
	v_add_f64_e32 v[99:100], v[201:202], v[99:100]
	v_fma_f64 v[36:37], v[46:47], s[24:25], v[159:160]
	v_fma_f64 v[177:178], v[44:45], s[24:25], -v[161:162]
	v_fma_f64 v[159:160], v[46:47], s[24:25], -v[159:160]
	v_fma_f64 v[161:162], v[44:45], s[24:25], v[161:162]
	v_add_f64_e32 v[101:102], v[151:152], v[101:102]
	v_fma_f64 v[151:152], v[46:47], s[14:15], v[117:118]
	v_add_f64_e32 v[105:106], v[193:194], v[105:106]
	v_fma_f64 v[179:180], v[44:45], s[14:15], -v[119:120]
	v_fma_f64 v[117:118], v[46:47], s[14:15], -v[117:118]
	v_fma_f64 v[119:120], v[44:45], s[14:15], v[119:120]
	v_add_f64_e32 v[78:79], v[78:79], v[121:122]
	v_fma_f64 v[121:122], v[46:47], s[12:13], v[145:146]
	v_fma_f64 v[145:146], v[46:47], s[12:13], -v[145:146]
	v_fma_f64 v[183:184], v[46:47], s[18:19], v[74:75]
	v_add_f64_e32 v[24:25], v[24:25], v[34:35]
	v_add_f64_e32 v[14:15], v[22:23], v[14:15]
	;; [unrolled: 1-line block ×7, first 2 shown]
	v_fma_f64 v[181:182], v[70:71], s[18:19], v[137:138]
	v_fma_f64 v[137:138], v[70:71], s[18:19], -v[137:138]
	v_add_f64_e32 v[18:19], v[42:43], v[18:19]
	v_add_f64_e32 v[32:33], v[199:200], v[32:33]
	;; [unrolled: 1-line block ×3, first 2 shown]
	v_fma_f64 v[93:94], v[46:47], s[10:11], v[135:136]
	v_fma_f64 v[135:136], v[46:47], s[10:11], -v[135:136]
	v_add_f64_e32 v[76:77], v[82:83], v[76:77]
	v_mul_f64_e32 v[82:83], s[22:23], v[64:65]
	v_fma_f64 v[109:110], v[68:69], s[18:19], -v[163:164]
	v_add_f64_e32 v[111:112], v[111:112], v[157:158]
	v_fma_f64 v[157:158], v[44:45], s[12:13], -v[165:166]
	v_fma_f64 v[165:166], v[44:45], s[12:13], v[165:166]
	v_fma_f64 v[46:47], v[46:47], s[18:19], -v[74:75]
	v_fma_f64 v[74:75], v[44:45], s[18:19], -v[72:73]
	v_fma_f64 v[44:45], v[44:45], s[18:19], v[72:73]
	v_fma_f64 v[72:73], v[68:69], s[14:15], -v[107:108]
	v_add_f64_e32 v[42:43], v[175:176], v[99:100]
	v_mul_f64_e32 v[30:31], s[2:3], v[66:67]
	v_mul_f64_e32 v[64:65], s[2:3], v[64:65]
	v_add_f64_e32 v[16:17], v[40:41], v[16:17]
	v_mul_f64_e32 v[66:67], s[22:23], v[62:63]
	v_fma_f64 v[103:104], v[70:71], s[14:15], -v[103:104]
	v_add_f64_e32 v[99:100], v[125:126], v[105:106]
	v_add_f64_e32 v[80:81], v[159:160], v[80:81]
	;; [unrolled: 1-line block ×3, first 2 shown]
	v_fma_f64 v[113:114], v[68:69], s[10:11], v[131:132]
	v_add_f64_e32 v[36:37], v[36:37], v[78:79]
	v_add_f64_e32 v[78:79], v[177:178], v[87:88]
	v_add_f64_e32 v[87:88], v[161:162], v[91:92]
	v_fma_f64 v[117:118], v[68:69], s[16:17], -v[171:172]
	v_add_f64_e32 v[24:25], v[121:122], v[24:25]
	v_add_f64_e32 v[10:11], v[14:15], v[10:11]
	;; [unrolled: 1-line block ×3, first 2 shown]
	v_fma_f64 v[121:122], v[68:69], s[16:17], v[171:172]
	v_add_f64_e32 v[14:15], v[145:146], v[22:23]
	v_fma_f64 v[125:126], v[70:71], s[24:25], v[38:39]
	v_add_f64_e32 v[22:23], v[183:184], v[28:29]
	v_fma_f64 v[28:29], v[68:69], s[10:11], -v[131:132]
	v_fma_f64 v[38:39], v[70:71], s[24:25], -v[38:39]
	v_mul_f64_e32 v[95:96], s[20:21], v[62:63]
	v_add_f64_e32 v[32:33], v[149:150], v[32:33]
	v_fma_f64 v[107:108], v[68:69], s[14:15], v[107:108]
	v_fma_f64 v[163:164], v[68:69], s[18:19], v[163:164]
	v_add_f64_e32 v[40:41], v[135:136], v[101:102]
	v_add_f64_e32 v[34:35], v[173:174], v[76:77]
	v_add_f64_e32 v[76:77], v[133:134], v[85:86]
	v_add_f64_e32 v[85:86], v[141:142], v[89:90]
	v_add_f64_e32 v[89:90], v[93:94], v[97:98]
	v_add_f64_e32 v[133:134], v[209:210], v[147:148]
	v_mul_f64_e32 v[93:94], s[22:23], v[60:61]
	v_add_f64_e32 v[91:92], v[151:152], v[111:112]
	v_add_f64_e32 v[101:102], v[179:180], v[143:144]
	;; [unrolled: 1-line block ×5, first 2 shown]
	v_fma_f64 v[26:27], v[70:71], s[10:11], v[139:140]
	v_fma_f64 v[119:120], v[70:71], s[16:17], -v[169:170]
	v_fma_f64 v[129:130], v[68:69], s[24:25], -v[82:83]
	v_fma_f64 v[82:83], v[68:69], s[24:25], v[82:83]
	v_mul_f64_e32 v[135:136], s[6:7], v[62:63]
	v_add_f64_e32 v[42:43], v[72:73], v[42:43]
	v_mul_f64_e32 v[72:73], s[6:7], v[60:61]
	v_mul_f64_e32 v[97:98], s[20:21], v[60:61]
	v_fma_f64 v[131:132], v[70:71], s[12:13], v[30:31]
	v_fma_f64 v[30:31], v[70:71], s[12:13], -v[30:31]
	v_add_f64_e32 v[18:19], v[46:47], v[18:19]
	v_fma_f64 v[46:47], v[68:69], s[12:13], v[64:65]
	v_add_f64_e32 v[16:17], v[44:45], v[16:17]
	v_fma_f64 v[64:65], v[68:69], s[12:13], -v[64:65]
	v_add_f64_e32 v[28:29], v[28:29], v[78:79]
	v_add_f64_e32 v[78:79], v[113:114], v[87:88]
	v_fma_f64 v[44:45], v[50:51], s[18:19], v[95:96]
	v_add_f64_e32 v[32:33], v[109:110], v[32:33]
	v_fma_f64 v[109:110], v[70:71], s[10:11], -v[139:140]
	v_add_f64_e32 v[99:100], v[107:108], v[99:100]
	v_add_f64_e32 v[40:41], v[103:104], v[40:41]
	;; [unrolled: 1-line block ×4, first 2 shown]
	v_mul_f64_e32 v[137:138], s[2:3], v[62:63]
	v_add_f64_e32 v[89:90], v[115:116], v[89:90]
	v_fma_f64 v[115:116], v[70:71], s[16:17], v[169:170]
	v_add_f64_e32 v[74:75], v[74:75], v[133:134]
	v_mul_f64_e32 v[133:134], s[2:3], v[60:61]
	v_mul_f64_e32 v[62:63], s[0:1], v[62:63]
	;; [unrolled: 1-line block ×3, first 2 shown]
	v_fma_f64 v[103:104], v[50:51], s[24:25], v[66:67]
	v_fma_f64 v[70:71], v[48:49], s[24:25], -v[93:94]
	v_add_f64_e32 v[26:27], v[26:27], v[36:37]
	v_add_f64_e32 v[87:88], v[117:118], v[101:102]
	;; [unrolled: 1-line block ×3, first 2 shown]
	v_fma_f64 v[121:122], v[48:49], s[14:15], v[127:128]
	v_fma_f64 v[111:112], v[50:51], s[16:17], -v[135:136]
	v_fma_f64 v[95:96], v[50:51], s[18:19], -v[95:96]
	v_fma_f64 v[113:114], v[48:49], s[16:17], -v[72:73]
	v_fma_f64 v[72:73], v[48:49], s[16:17], v[72:73]
	v_fma_f64 v[68:69], v[48:49], s[18:19], -v[97:98]
	v_fma_f64 v[97:98], v[48:49], s[18:19], v[97:98]
	v_add_f64_e32 v[85:86], v[163:164], v[85:86]
	v_fma_f64 v[66:67], v[50:51], s[24:25], -v[66:67]
	v_fma_f64 v[93:94], v[48:49], s[24:25], v[93:94]
	v_fma_f64 v[127:128], v[48:49], s[14:15], -v[127:128]
	v_add_f64_e32 v[107:108], v[10:11], v[6:7]
	v_add_f64_e32 v[139:140], v[8:9], v[4:5]
	;; [unrolled: 1-line block ×4, first 2 shown]
	v_fma_f64 v[117:118], v[50:51], s[12:13], -v[137:138]
	v_add_f64_e32 v[80:81], v[115:116], v[91:92]
	v_add_f64_e32 v[91:92], v[119:120], v[105:106]
	;; [unrolled: 1-line block ×5, first 2 shown]
	v_fma_f64 v[119:120], v[50:51], s[14:15], -v[123:124]
	v_fma_f64 v[20:21], v[50:51], s[16:17], v[135:136]
	v_fma_f64 v[125:126], v[48:49], s[12:13], v[133:134]
	;; [unrolled: 1-line block ×3, first 2 shown]
	v_fma_f64 v[129:130], v[48:49], s[12:13], -v[133:134]
	v_fma_f64 v[123:124], v[50:51], s[14:15], v[123:124]
	v_add_f64_e32 v[82:83], v[131:132], v[22:23]
	v_fma_f64 v[131:132], v[50:51], s[10:11], v[62:63]
	v_fma_f64 v[50:51], v[50:51], s[10:11], -v[62:63]
	v_add_f64_e32 v[62:63], v[30:31], v[18:19]
	v_fma_f64 v[133:134], v[48:49], s[10:11], v[60:61]
	v_add_f64_e32 v[135:136], v[46:47], v[16:17]
	v_fma_f64 v[60:61], v[48:49], s[10:11], -v[60:61]
	v_add_f64_e32 v[64:65], v[64:65], v[74:75]
	v_add_f64_e32 v[6:7], v[103:104], v[34:35]
	;; [unrolled: 1-line block ×27, first 2 shown]
	ds_store_b128 v53, v[32:35] offset:32
	ds_store_b128 v53, v[28:31] offset:48
	;; [unrolled: 1-line block ×11, first 2 shown]
	ds_store_b128 v53, v[0:3]
	ds_store_b128 v53, v[44:47] offset:192
.LBB0_19:
	s_or_b32 exec_lo, exec_lo, s33
	v_add_nc_u32_e32 v0, 0x9c, v52
	v_and_b32_e32 v53, 0xff, v52
	v_add_nc_u32_e32 v1, 0x138, v52
	v_add_nc_u32_e32 v3, 0x1d4, v52
	global_wb scope:SCOPE_SE
	s_wait_dscnt 0x0
	v_and_b32_e32 v11, 0xffff, v0
	v_mul_lo_u16 v2, 0x4f, v53
	v_and_b32_e32 v6, 0xffff, v1
	s_barrier_signal -1
	s_barrier_wait -1
	v_mul_u32_u24_e32 v4, 0x4ec5, v11
	v_lshrrev_b16 v5, 10, v2
	v_and_b32_e32 v2, 0xffff, v3
	v_mul_u32_u24_e32 v8, 0x4ec5, v6
	global_inv scope:SCOPE_SE
	v_lshrrev_b32_e32 v7, 18, v4
	v_mul_lo_u16 v4, v5, 13
	v_mul_u32_u24_e32 v2, 0x4ec5, v2
	v_lshrrev_b32_e32 v8, 18, v8
	v_mul_lo_u16 v53, 0xa5, v53
	v_mul_lo_u16 v10, v7, 13
	v_sub_nc_u16 v4, v52, v4
	v_lshrrev_b32_e32 v9, 18, v2
	v_mul_lo_u16 v2, v8, 13
	v_lshrrev_b16 v53, 8, v53
	v_sub_nc_u16 v12, v0, v10
	v_and_b32_e32 v10, 0xff, v4
	v_mul_lo_u16 v4, v9, 13
	v_sub_nc_u16 v13, v1, v2
	v_mul_u32_u24_e32 v6, 0xa41b, v6
	v_and_b32_e32 v2, 0xffff, v12
	v_lshlrev_b32_e32 v16, 5, v10
	v_sub_nc_u16 v4, v3, v4
	v_and_b32_e32 v3, 0xffff, v13
	v_and_b32_e32 v105, 0xffff, v5
	v_lshlrev_b32_e32 v24, 5, v2
	s_clause 0x1
	global_load_b128 v[12:15], v16, s[4:5]
	global_load_b128 v[16:19], v16, s[4:5] offset:16
	v_and_b32_e32 v4, 0xffff, v4
	v_lshlrev_b32_e32 v32, 5, v3
	v_lshrrev_b32_e32 v106, 16, v6
	s_clause 0x1
	global_load_b128 v[20:23], v24, s[4:5]
	global_load_b128 v[24:27], v24, s[4:5] offset:16
	v_mul_u32_u24_e32 v11, 0xa41b, v11
	v_lshlrev_b32_e32 v40, 5, v4
	s_clause 0x3
	global_load_b128 v[28:31], v32, s[4:5]
	global_load_b128 v[32:35], v32, s[4:5] offset:16
	global_load_b128 v[36:39], v40, s[4:5]
	global_load_b128 v[40:43], v40, s[4:5] offset:16
	ds_load_b128 v[44:47], v84 offset:9984
	ds_load_b128 v[48:51], v84 offset:19968
	;; [unrolled: 1-line block ×8, first 2 shown]
	v_lshrrev_b32_e32 v11, 16, v11
	v_mul_u32_u24_e32 v108, 0x270, v8
	s_mov_b32 s0, 0xe8584caa
	s_mov_b32 s1, 0xbfebb67a
	;; [unrolled: 1-line block ×3, first 2 shown]
	s_wait_alu 0xfffe
	s_mov_b32 s2, s0
	v_lshlrev_b32_e32 v109, 4, v10
	v_mul_u32_u24_e32 v105, 0x270, v105
	v_lshlrev_b32_e32 v2, 4, v2
	v_lshlrev_b32_e32 v4, 4, v4
	;; [unrolled: 1-line block ×3, first 2 shown]
	s_delay_alu instid0(VALU_DEP_1)
	v_add3_u32 v3, 0, v108, v3
	s_wait_loadcnt_dscnt 0x707
	v_mul_f64_e32 v[85:86], v[46:47], v[14:15]
	v_mul_f64_e32 v[14:15], v[44:45], v[14:15]
	s_wait_loadcnt_dscnt 0x606
	v_mul_f64_e32 v[87:88], v[50:51], v[18:19]
	v_mul_f64_e32 v[18:19], v[48:49], v[18:19]
	;; [unrolled: 3-line block ×4, first 2 shown]
	s_wait_loadcnt_dscnt 0x303
	v_mul_f64_e32 v[93:94], v[70:71], v[30:31]
	s_wait_loadcnt_dscnt 0x202
	v_mul_f64_e32 v[95:96], v[74:75], v[34:35]
	v_mul_f64_e32 v[30:31], v[68:69], v[30:31]
	;; [unrolled: 1-line block ×3, first 2 shown]
	s_wait_loadcnt_dscnt 0x101
	v_mul_f64_e32 v[97:98], v[78:79], v[38:39]
	v_mul_f64_e32 v[38:39], v[76:77], v[38:39]
	s_wait_loadcnt_dscnt 0x0
	v_mul_f64_e32 v[99:100], v[82:83], v[42:43]
	v_mul_f64_e32 v[42:43], v[80:81], v[42:43]
	v_fma_f64 v[44:45], v[44:45], v[12:13], v[85:86]
	v_fma_f64 v[46:47], v[46:47], v[12:13], -v[14:15]
	v_fma_f64 v[48:49], v[48:49], v[16:17], v[87:88]
	v_fma_f64 v[50:51], v[50:51], v[16:17], -v[18:19]
	;; [unrolled: 2-line block ×4, first 2 shown]
	v_fma_f64 v[68:69], v[68:69], v[28:29], v[93:94]
	v_fma_f64 v[72:73], v[72:73], v[32:33], v[95:96]
	v_fma_f64 v[28:29], v[70:71], v[28:29], -v[30:31]
	v_fma_f64 v[30:31], v[74:75], v[32:33], -v[34:35]
	v_fma_f64 v[32:33], v[76:77], v[36:37], v[97:98]
	v_fma_f64 v[34:35], v[78:79], v[36:37], -v[38:39]
	v_fma_f64 v[36:37], v[80:81], v[40:41], v[99:100]
	v_fma_f64 v[38:39], v[82:83], v[40:41], -v[42:43]
	ds_load_b128 v[12:15], v84
	ds_load_b128 v[16:19], v84 offset:2496
	ds_load_b128 v[20:23], v84 offset:4992
	;; [unrolled: 1-line block ×3, first 2 shown]
	v_sub_nc_u16 v85, v52, v53
	global_wb scope:SCOPE_SE
	s_wait_dscnt 0x0
	s_barrier_signal -1
	s_barrier_wait -1
	global_inv scope:SCOPE_SE
	v_lshrrev_b16 v107, 1, v85
	v_add_f64_e32 v[5:6], v[12:13], v[44:45]
	v_add_f64_e32 v[40:41], v[44:45], v[48:49]
	;; [unrolled: 1-line block ×3, first 2 shown]
	v_add_f64_e64 v[85:86], v[46:47], -v[50:51]
	v_add_f64_e32 v[46:47], v[14:15], v[46:47]
	v_add_f64_e32 v[70:71], v[60:61], v[64:65]
	;; [unrolled: 1-line block ×3, first 2 shown]
	v_add_f64_e64 v[44:45], v[44:45], -v[48:49]
	v_add_f64_e32 v[76:77], v[68:69], v[72:73]
	v_add_f64_e32 v[87:88], v[16:17], v[60:61]
	;; [unrolled: 1-line block ×7, first 2 shown]
	v_add_f64_e64 v[62:63], v[62:63], -v[66:67]
	v_add_f64_e64 v[60:61], v[60:61], -v[64:65]
	v_add_f64_e32 v[95:96], v[24:25], v[32:33]
	v_add_f64_e32 v[91:92], v[20:21], v[68:69]
	;; [unrolled: 1-line block ×3, first 2 shown]
	v_add_f64_e64 v[99:100], v[28:29], -v[30:31]
	v_add_f64_e64 v[68:69], v[68:69], -v[72:73]
	;; [unrolled: 1-line block ×4, first 2 shown]
	v_add_f64_e32 v[5:6], v[5:6], v[48:49]
	v_add3_u32 v49, 0, v105, v109
	v_fma_f64 v[40:41], v[40:41], -0.5, v[12:13]
	v_fma_f64 v[42:43], v[42:43], -0.5, v[14:15]
	v_sub_nc_u16 v12, v0, v11
	v_sub_nc_u16 v13, v1, v106
	v_fma_f64 v[70:71], v[70:71], -0.5, v[16:17]
	v_fma_f64 v[74:75], v[74:75], -0.5, v[18:19]
	v_and_b32_e32 v14, 0x7f, v107
	v_fma_f64 v[76:77], v[76:77], -0.5, v[20:21]
	v_mul_u32_u24_e32 v107, 0x270, v7
	v_fma_f64 v[78:79], v[78:79], -0.5, v[22:23]
	v_lshrrev_b16 v7, 1, v12
	v_lshrrev_b16 v8, 1, v13
	v_fma_f64 v[80:81], v[80:81], -0.5, v[24:25]
	v_fma_f64 v[82:83], v[82:83], -0.5, v[26:27]
	v_add_nc_u16 v12, v14, v53
	v_add_nc_u16 v110, v7, v11
	;; [unrolled: 1-line block ×3, first 2 shown]
	v_add_f64_e32 v[7:8], v[46:47], v[50:51]
	v_mul_u32_u24_e32 v53, 0x270, v9
	v_lshrrev_b16 v111, 5, v12
	v_add_f64_e32 v[9:10], v[87:88], v[64:65]
	v_add_f64_e32 v[11:12], v[89:90], v[66:67]
	;; [unrolled: 1-line block ×6, first 2 shown]
	v_lshrrev_b16 v105, 5, v106
	v_add3_u32 v2, 0, v107, v2
	v_add3_u32 v4, 0, v53, v4
	s_delay_alu instid0(VALU_DEP_3) | instskip(NEXT) | instid1(VALU_DEP_1)
	v_mul_lo_u16 v64, v105, 39
	v_sub_nc_u16 v1, v1, v64
	v_fma_f64 v[21:22], v[85:86], s[0:1], v[40:41]
	s_wait_alu 0xfffe
	v_fma_f64 v[23:24], v[44:45], s[2:3], v[42:43]
	v_fma_f64 v[25:26], v[85:86], s[2:3], v[40:41]
	;; [unrolled: 1-line block ×15, first 2 shown]
	v_and_b32_e32 v103, 7, v111
	v_lshrrev_b16 v104, 5, v110
	v_and_b32_e32 v53, 0xffff, v1
	ds_store_b128 v49, v[5:8]
	ds_store_b128 v49, v[21:24] offset:208
	ds_store_b128 v49, v[25:28] offset:416
	ds_store_b128 v2, v[9:12]
	ds_store_b128 v2, v[29:32] offset:208
	ds_store_b128 v2, v[33:36] offset:416
	;; [unrolled: 3-line block ×4, first 2 shown]
	v_mul_lo_u16 v50, v103, 39
	v_mul_lo_u16 v51, v104, 39
	v_mul_u32_u24_e32 v16, 3, v53
	global_wb scope:SCOPE_SE
	s_wait_dscnt 0x0
	s_barrier_signal -1
	v_sub_nc_u16 v50, v52, v50
	v_sub_nc_u16 v0, v0, v51
	s_barrier_wait -1
	global_inv scope:SCOPE_SE
	v_lshlrev_b32_e32 v32, 4, v16
	v_and_b32_e32 v106, 0xff, v50
	v_and_b32_e32 v107, 0xffff, v0
	v_lshlrev_b32_e32 v53, 4, v53
	s_delay_alu instid0(VALU_DEP_3) | instskip(NEXT) | instid1(VALU_DEP_3)
	v_mul_u32_u24_e32 v0, 3, v106
	v_mul_u32_u24_e32 v50, 3, v107
	s_delay_alu instid0(VALU_DEP_2) | instskip(NEXT) | instid1(VALU_DEP_2)
	v_lshlrev_b32_e32 v51, 4, v0
	v_lshlrev_b32_e32 v20, 4, v50
	s_clause 0x8
	global_load_b128 v[0:3], v51, s[4:5] offset:432
	global_load_b128 v[4:7], v51, s[4:5] offset:416
	;; [unrolled: 1-line block ×9, first 2 shown]
	ds_load_b128 v[36:39], v84 offset:7488
	ds_load_b128 v[40:43], v84 offset:14976
	;; [unrolled: 1-line block ×10, first 2 shown]
	s_wait_loadcnt_dscnt 0x405
	v_mul_f64_e32 v[93:94], v[62:63], v[18:19]
	v_mul_f64_e32 v[87:88], v[42:43], v[2:3]
	;; [unrolled: 1-line block ×10, first 2 shown]
	s_wait_loadcnt_dscnt 0x304
	v_mul_f64_e32 v[95:96], v[66:67], v[22:23]
	v_mul_f64_e32 v[22:23], v[64:65], v[22:23]
	s_wait_loadcnt_dscnt 0x203
	v_mul_f64_e32 v[97:98], v[70:71], v[26:27]
	v_mul_f64_e32 v[26:27], v[68:69], v[26:27]
	;; [unrolled: 3-line block ×4, first 2 shown]
	v_fma_f64 v[40:41], v[40:41], v[0:1], v[87:88]
	v_fma_f64 v[36:37], v[36:37], v[4:5], v[85:86]
	v_fma_f64 v[38:39], v[38:39], v[4:5], -v[6:7]
	v_fma_f64 v[42:43], v[42:43], v[0:1], -v[2:3]
	v_fma_f64 v[44:45], v[44:45], v[8:9], v[89:90]
	v_fma_f64 v[8:9], v[46:47], v[8:9], -v[10:11]
	v_fma_f64 v[10:11], v[48:49], v[12:13], v[91:92]
	;; [unrolled: 2-line block ×7, first 2 shown]
	v_fma_f64 v[32:33], v[78:79], v[32:33], -v[34:35]
	ds_load_b128 v[0:3], v84
	ds_load_b128 v[4:7], v84 offset:2496
	global_wb scope:SCOPE_SE
	s_wait_dscnt 0x0
	s_barrier_signal -1
	s_barrier_wait -1
	global_inv scope:SCOPE_SE
	v_add_f64_e64 v[34:35], v[0:1], -v[40:41]
	v_add_f64_e64 v[40:41], v[2:3], -v[42:43]
	v_add_f64_e64 v[42:43], v[36:37], -v[44:45]
	v_add_f64_e64 v[8:9], v[38:39], -v[8:9]
	v_add_f64_e64 v[44:45], v[4:5], -v[14:15]
	v_add_f64_e64 v[46:47], v[6:7], -v[16:17]
	v_add_f64_e64 v[16:17], v[10:11], -v[18:19]
	v_add_f64_e64 v[14:15], v[12:13], -v[20:21]
	v_add_f64_e64 v[48:49], v[80:81], -v[26:27]
	v_add_f64_e64 v[50:51], v[82:83], -v[28:29]
	v_add_f64_e64 v[18:19], v[22:23], -v[30:31]
	v_add_f64_e64 v[20:21], v[24:25], -v[32:33]
	v_fma_f64 v[30:31], v[0:1], 2.0, -v[34:35]
	v_fma_f64 v[60:61], v[2:3], 2.0, -v[40:41]
	v_fma_f64 v[26:27], v[36:37], 2.0, -v[42:43]
	v_fma_f64 v[28:29], v[38:39], 2.0, -v[8:9]
	v_add_f64_e32 v[0:1], v[34:35], v[8:9]
	v_add_f64_e64 v[2:3], v[40:41], -v[42:43]
	v_fma_f64 v[36:37], v[4:5], 2.0, -v[44:45]
	v_fma_f64 v[38:39], v[6:7], 2.0, -v[46:47]
	;; [unrolled: 1-line block ×4, first 2 shown]
	v_add_f64_e32 v[4:5], v[44:45], v[14:15]
	v_fma_f64 v[62:63], v[80:81], 2.0, -v[48:49]
	v_fma_f64 v[64:65], v[82:83], 2.0, -v[50:51]
	;; [unrolled: 1-line block ×4, first 2 shown]
	v_add_f64_e64 v[18:19], v[50:51], -v[18:19]
	v_add_f64_e64 v[8:9], v[30:31], -v[26:27]
	;; [unrolled: 1-line block ×3, first 2 shown]
	v_fma_f64 v[26:27], v[40:41], 2.0, -v[2:3]
	v_add_f64_e64 v[12:13], v[36:37], -v[6:7]
	v_add_f64_e64 v[14:15], v[38:39], -v[32:33]
	;; [unrolled: 1-line block ×3, first 2 shown]
	v_add_f64_e32 v[16:17], v[48:49], v[20:21]
	v_fma_f64 v[28:29], v[44:45], 2.0, -v[4:5]
	v_add_f64_e64 v[20:21], v[62:63], -v[22:23]
	v_add_f64_e64 v[22:23], v[64:65], -v[24:25]
	v_fma_f64 v[24:25], v[34:35], 2.0, -v[0:1]
	v_fma_f64 v[42:43], v[50:51], 2.0, -v[18:19]
	v_and_b32_e32 v50, 0xffff, v103
	v_mul_u32_u24_e32 v51, 5, v52
	s_delay_alu instid0(VALU_DEP_2) | instskip(NEXT) | instid1(VALU_DEP_2)
	v_mul_u32_u24_e32 v50, 0x9c0, v50
	v_lshlrev_b32_e32 v51, 4, v51
	v_fma_f64 v[32:33], v[30:31], 2.0, -v[8:9]
	v_fma_f64 v[34:35], v[60:61], 2.0, -v[10:11]
	v_lshlrev_b32_e32 v61, 4, v106
	v_lshlrev_b32_e32 v60, 4, v107
	v_fma_f64 v[36:37], v[36:37], 2.0, -v[12:13]
	v_fma_f64 v[38:39], v[38:39], 2.0, -v[14:15]
	;; [unrolled: 1-line block ×4, first 2 shown]
	v_and_b32_e32 v48, 0xffff, v104
	v_and_b32_e32 v49, 0xffff, v105
	v_fma_f64 v[44:45], v[62:63], 2.0, -v[20:21]
	v_fma_f64 v[46:47], v[64:65], 2.0, -v[22:23]
	v_add3_u32 v50, 0, v50, v61
	v_mul_u32_u24_e32 v48, 0x9c0, v48
	v_mul_u32_u24_e32 v49, 0x9c0, v49
	s_delay_alu instid0(VALU_DEP_2) | instskip(NEXT) | instid1(VALU_DEP_2)
	v_add3_u32 v48, 0, v48, v60
	v_add3_u32 v49, 0, v49, v53
	ds_store_b128 v50, v[8:11] offset:1248
	ds_store_b128 v50, v[0:3] offset:1872
	ds_store_b128 v50, v[32:35]
	ds_store_b128 v50, v[24:27] offset:624
	ds_store_b128 v48, v[36:39]
	ds_store_b128 v48, v[28:31] offset:624
	ds_store_b128 v48, v[12:15] offset:1248
	;; [unrolled: 1-line block ×3, first 2 shown]
	ds_store_b128 v49, v[44:47]
	ds_store_b128 v49, v[40:43] offset:624
	ds_store_b128 v49, v[20:23] offset:1248
	;; [unrolled: 1-line block ×3, first 2 shown]
	global_wb scope:SCOPE_SE
	s_wait_dscnt 0x0
	s_barrier_signal -1
	s_barrier_wait -1
	global_inv scope:SCOPE_SE
	s_clause 0x4
	global_load_b128 v[0:3], v51, s[4:5] offset:2320
	global_load_b128 v[4:7], v51, s[4:5] offset:2352
	;; [unrolled: 1-line block ×5, first 2 shown]
	ds_load_b128 v[20:23], v84 offset:14976
	ds_load_b128 v[24:27], v84 offset:24960
	;; [unrolled: 1-line block ×6, first 2 shown]
	s_wait_loadcnt_dscnt 0x405
	v_mul_f64_e32 v[44:45], v[20:21], v[2:3]
	s_wait_loadcnt_dscnt 0x304
	v_mul_f64_e32 v[46:47], v[24:25], v[6:7]
	s_wait_dscnt 0x3
	v_mul_f64_e32 v[48:49], v[28:29], v[2:3]
	s_wait_dscnt 0x2
	v_mul_f64_e32 v[50:51], v[32:33], v[6:7]
	s_wait_loadcnt_dscnt 0x201
	v_mul_f64_e32 v[68:69], v[36:37], v[10:11]
	v_mul_f64_e32 v[70:71], v[22:23], v[2:3]
	;; [unrolled: 1-line block ×3, first 2 shown]
	s_wait_dscnt 0x0
	v_mul_f64_e32 v[74:75], v[40:41], v[10:11]
	v_mul_f64_e32 v[2:3], v[30:31], v[2:3]
	;; [unrolled: 1-line block ×5, first 2 shown]
	v_fma_f64 v[22:23], v[22:23], v[0:1], -v[44:45]
	v_fma_f64 v[26:27], v[26:27], v[4:5], -v[46:47]
	;; [unrolled: 1-line block ×4, first 2 shown]
	ds_load_b128 v[44:47], v84 offset:9984
	ds_load_b128 v[48:51], v84 offset:19968
	;; [unrolled: 1-line block ×4, first 2 shown]
	v_fma_f64 v[20:21], v[20:21], v[0:1], v[70:71]
	v_fma_f64 v[24:25], v[24:25], v[4:5], v[72:73]
	v_fma_f64 v[38:39], v[38:39], v[8:9], -v[68:69]
	v_fma_f64 v[28:29], v[28:29], v[0:1], v[2:3]
	v_fma_f64 v[32:33], v[32:33], v[4:5], v[6:7]
	v_fma_f64 v[42:43], v[42:43], v[8:9], -v[74:75]
	v_fma_f64 v[36:37], v[36:37], v[8:9], v[76:77]
	v_fma_f64 v[8:9], v[40:41], v[8:9], v[10:11]
	s_wait_loadcnt_dscnt 0x103
	v_mul_f64_e32 v[78:79], v[46:47], v[14:15]
	v_mul_f64_e32 v[80:81], v[44:45], v[14:15]
	s_wait_loadcnt_dscnt 0x2
	v_mul_f64_e32 v[82:83], v[50:51], v[18:19]
	v_mul_f64_e32 v[85:86], v[48:49], v[18:19]
	s_wait_dscnt 0x1
	v_mul_f64_e32 v[70:71], v[62:63], v[14:15]
	v_mul_f64_e32 v[14:15], v[60:61], v[14:15]
	s_wait_dscnt 0x0
	v_mul_f64_e32 v[72:73], v[66:67], v[18:19]
	v_mul_f64_e32 v[18:19], v[64:65], v[18:19]
	v_add_f64_e32 v[68:69], v[22:23], v[26:27]
	v_add_f64_e32 v[0:1], v[30:31], v[34:35]
	;; [unrolled: 1-line block ×3, first 2 shown]
	v_add_f64_e64 v[4:5], v[20:21], -v[24:25]
	v_add_f64_e32 v[10:11], v[28:29], v[32:33]
	v_add_f64_e32 v[20:21], v[36:37], v[20:21]
	v_fma_f64 v[44:45], v[44:45], v[12:13], v[78:79]
	v_fma_f64 v[46:47], v[46:47], v[12:13], -v[80:81]
	v_fma_f64 v[48:49], v[48:49], v[16:17], v[82:83]
	v_fma_f64 v[50:51], v[50:51], v[16:17], -v[85:86]
	;; [unrolled: 2-line block ×4, first 2 shown]
	v_add_f64_e64 v[18:19], v[28:29], -v[32:33]
	v_add_f64_e64 v[66:67], v[22:23], -v[26:27]
	;; [unrolled: 1-line block ×3, first 2 shown]
	v_add_f64_e32 v[22:23], v[38:39], v[22:23]
	v_fma_f64 v[6:7], v[68:69], -0.5, v[38:39]
	v_fma_f64 v[40:41], v[0:1], -0.5, v[42:43]
	v_fma_f64 v[68:69], v[2:3], -0.5, v[36:37]
	ds_load_b128 v[0:3], v84
	v_fma_f64 v[10:11], v[10:11], -0.5, v[8:9]
	v_add_f64_e32 v[8:9], v[8:9], v[28:29]
	v_add_f64_e32 v[28:29], v[42:43], v[30:31]
	;; [unrolled: 1-line block ×5, first 2 shown]
	v_add_f64_e64 v[82:83], v[46:47], -v[50:51]
	v_add_f64_e32 v[74:75], v[60:61], v[14:15]
	v_add_f64_e32 v[76:77], v[12:13], v[16:17]
	v_add_f64_e64 v[38:39], v[12:13], -v[16:17]
	v_add_f64_e32 v[22:23], v[22:23], v[26:27]
	v_fma_f64 v[70:71], v[4:5], s[2:3], v[6:7]
	v_fma_f64 v[72:73], v[4:5], s[0:1], v[6:7]
	ds_load_b128 v[4:7], v84 offset:2496
	v_fma_f64 v[80:81], v[18:19], s[2:3], v[40:41]
	v_fma_f64 v[18:19], v[18:19], s[0:1], v[40:41]
	s_wait_dscnt 0x1
	v_add_f64_e32 v[40:41], v[0:1], v[44:45]
	v_add_f64_e32 v[46:47], v[2:3], v[46:47]
	v_add_f64_e64 v[44:45], v[44:45], -v[48:49]
	v_fma_f64 v[30:31], v[66:67], s[0:1], v[68:69]
	v_fma_f64 v[42:43], v[66:67], s[2:3], v[68:69]
	v_add_f64_e32 v[24:25], v[28:29], v[34:35]
	global_wb scope:SCOPE_SE
	s_wait_dscnt 0x0
	s_barrier_signal -1
	s_barrier_wait -1
	global_inv scope:SCOPE_SE
	v_add_f64_e32 v[36:37], v[4:5], v[60:61]
	v_add_f64_e32 v[12:13], v[6:7], v[12:13]
	v_fma_f64 v[0:1], v[62:63], -0.5, v[0:1]
	v_fma_f64 v[2:3], v[64:65], -0.5, v[2:3]
	v_add_f64_e64 v[60:61], v[60:61], -v[14:15]
	v_fma_f64 v[4:5], v[74:75], -0.5, v[4:5]
	v_fma_f64 v[6:7], v[76:77], -0.5, v[6:7]
	v_mul_f64_e32 v[62:63], s[0:1], v[70:71]
	v_mul_f64_e32 v[66:67], 0.5, v[70:71]
	v_mul_f64_e32 v[64:65], s[0:1], v[72:73]
	v_mul_f64_e32 v[68:69], -0.5, v[72:73]
	v_fma_f64 v[70:71], v[78:79], s[0:1], v[10:11]
	v_mul_f64_e32 v[72:73], s[0:1], v[80:81]
	v_mul_f64_e32 v[76:77], 0.5, v[80:81]
	v_fma_f64 v[10:11], v[78:79], s[2:3], v[10:11]
	v_mul_f64_e32 v[74:75], s[0:1], v[18:19]
	v_mul_f64_e32 v[18:19], -0.5, v[18:19]
	v_add_f64_e32 v[40:41], v[40:41], v[48:49]
	v_add_f64_e32 v[46:47], v[46:47], v[50:51]
	;; [unrolled: 1-line block ×5, first 2 shown]
	v_fma_f64 v[26:27], v[82:83], s[0:1], v[0:1]
	v_fma_f64 v[32:33], v[44:45], s[2:3], v[2:3]
	;; [unrolled: 1-line block ×6, first 2 shown]
	v_fma_f64 v[36:37], v[30:31], 0.5, v[62:63]
	v_fma_f64 v[30:31], v[30:31], s[2:3], v[66:67]
	v_fma_f64 v[44:45], v[42:43], -0.5, v[64:65]
	v_fma_f64 v[42:43], v[42:43], s[2:3], v[68:69]
	v_fma_f64 v[62:63], v[60:61], s[2:3], v[6:7]
	v_fma_f64 v[64:65], v[70:71], 0.5, v[72:73]
	v_fma_f64 v[68:69], v[70:71], s[2:3], v[76:77]
	v_fma_f64 v[60:61], v[60:61], s[0:1], v[6:7]
	v_fma_f64 v[66:67], v[10:11], -0.5, v[74:75]
	v_fma_f64 v[70:71], v[10:11], s[2:3], v[18:19]
	v_add_f64_e32 v[0:1], v[40:41], v[20:21]
	v_add_f64_e32 v[2:3], v[46:47], v[22:23]
	v_add_f64_e64 v[4:5], v[40:41], -v[20:21]
	v_add_f64_e64 v[6:7], v[46:47], -v[22:23]
	v_add_f64_e32 v[10:11], v[16:17], v[24:25]
	v_add_f64_e32 v[8:9], v[14:15], v[12:13]
	v_add_f64_e64 v[12:13], v[14:15], -v[12:13]
	v_add_f64_e64 v[14:15], v[16:17], -v[24:25]
	v_add_f64_e32 v[16:17], v[26:27], v[36:37]
	v_add_f64_e32 v[18:19], v[32:33], v[30:31]
	;; [unrolled: 1-line block ×4, first 2 shown]
	v_add_f64_e64 v[24:25], v[26:27], -v[36:37]
	v_add_f64_e64 v[26:27], v[32:33], -v[30:31]
	;; [unrolled: 1-line block ×4, first 2 shown]
	v_add_f64_e32 v[32:33], v[48:49], v[64:65]
	v_add_f64_e32 v[34:35], v[62:63], v[68:69]
	;; [unrolled: 1-line block ×4, first 2 shown]
	v_add_f64_e64 v[40:41], v[48:49], -v[64:65]
	v_add_f64_e64 v[42:43], v[62:63], -v[68:69]
	;; [unrolled: 1-line block ×4, first 2 shown]
	v_add_co_u32 v48, s0, s4, v56
	s_wait_alu 0xf1ff
	v_add_co_ci_u32_e64 v49, s0, s5, v57, s0
	v_add_co_u32 v50, s0, s4, v58
	s_wait_alu 0xf1ff
	v_add_co_ci_u32_e64 v51, s0, s5, v59, s0
	ds_store_b128 v84, v[0:3]
	ds_store_b128 v84, v[16:19] offset:2496
	ds_store_b128 v84, v[20:23] offset:4992
	;; [unrolled: 1-line block ×11, first 2 shown]
	global_wb scope:SCOPE_SE
	s_wait_dscnt 0x0
	s_barrier_signal -1
	s_barrier_wait -1
	global_inv scope:SCOPE_SE
	s_clause 0x5
	global_load_b128 v[0:3], v[48:49], off offset:14768
	global_load_b128 v[4:7], v[50:51], off offset:17264
	;; [unrolled: 1-line block ×6, first 2 shown]
	ds_load_b128 v[24:27], v84 offset:14976
	ds_load_b128 v[28:31], v84 offset:17472
	;; [unrolled: 1-line block ×6, first 2 shown]
	s_wait_loadcnt_dscnt 0x505
	v_mul_f64_e32 v[48:49], v[26:27], v[2:3]
	v_mul_f64_e32 v[2:3], v[24:25], v[2:3]
	s_wait_loadcnt_dscnt 0x404
	v_mul_f64_e32 v[50:51], v[30:31], v[6:7]
	v_mul_f64_e32 v[6:7], v[28:29], v[6:7]
	;; [unrolled: 3-line block ×6, first 2 shown]
	v_fma_f64 v[24:25], v[24:25], v[0:1], v[48:49]
	v_fma_f64 v[26:27], v[26:27], v[0:1], -v[2:3]
	v_fma_f64 v[28:29], v[28:29], v[4:5], v[50:51]
	v_fma_f64 v[30:31], v[30:31], v[4:5], -v[6:7]
	;; [unrolled: 2-line block ×6, first 2 shown]
	ds_load_b128 v[0:3], v84
	ds_load_b128 v[4:7], v84 offset:2496
	ds_load_b128 v[8:11], v84 offset:4992
	;; [unrolled: 1-line block ×5, first 2 shown]
	global_wb scope:SCOPE_SE
	s_wait_dscnt 0x0
	s_barrier_signal -1
	s_barrier_wait -1
	global_inv scope:SCOPE_SE
	v_add_f64_e64 v[24:25], v[0:1], -v[24:25]
	v_add_f64_e64 v[26:27], v[2:3], -v[26:27]
	;; [unrolled: 1-line block ×12, first 2 shown]
	v_fma_f64 v[0:1], v[0:1], 2.0, -v[24:25]
	v_fma_f64 v[2:3], v[2:3], 2.0, -v[26:27]
	;; [unrolled: 1-line block ×12, first 2 shown]
	ds_store_b128 v84, v[24:27] offset:14976
	ds_store_b128 v84, v[28:31] offset:17472
	;; [unrolled: 1-line block ×6, first 2 shown]
	ds_store_b128 v84, v[0:3]
	ds_store_b128 v84, v[4:7] offset:2496
	ds_store_b128 v84, v[8:11] offset:4992
	ds_store_b128 v84, v[12:15] offset:7488
	ds_store_b128 v84, v[16:19] offset:9984
	ds_store_b128 v84, v[20:23] offset:12480
	global_wb scope:SCOPE_SE
	s_wait_dscnt 0x0
	s_barrier_signal -1
	s_barrier_wait -1
	global_inv scope:SCOPE_SE
	s_and_saveexec_b32 s0, vcc_lo
	s_cbranch_execz .LBB0_21
; %bb.20:
	v_lshl_add_u32 v34, v52, 4, 0
	v_dual_mov_b32 v53, 0 :: v_dual_add_nc_u32 v8, 0x9c, v52
	v_add_co_u32 v36, vcc_lo, s8, v54
	ds_load_b128 v[0:3], v34
	ds_load_b128 v[4:7], v34 offset:2496
	v_dual_mov_b32 v9, v53 :: v_dual_add_nc_u32 v12, 0x138, v52
	v_lshlrev_b64_e32 v[10:11], 4, v[52:53]
	s_wait_alu 0xfffd
	v_add_co_ci_u32_e32 v37, vcc_lo, s9, v55, vcc_lo
	s_delay_alu instid0(VALU_DEP_3) | instskip(SKIP_1) | instid1(VALU_DEP_4)
	v_lshlrev_b64_e32 v[8:9], 4, v[8:9]
	v_dual_mov_b32 v13, v53 :: v_dual_add_nc_u32 v14, 0x1d4, v52
	v_add_co_u32 v10, vcc_lo, v36, v10
	s_wait_alu 0xfffd
	v_add_co_ci_u32_e32 v11, vcc_lo, v37, v11, vcc_lo
	s_delay_alu instid0(VALU_DEP_4)
	v_add_co_u32 v8, vcc_lo, v36, v8
	s_wait_alu 0xfffd
	v_add_co_ci_u32_e32 v9, vcc_lo, v37, v9, vcc_lo
	v_lshlrev_b64_e32 v[12:13], 4, v[12:13]
	v_mov_b32_e32 v15, v53
	v_dual_mov_b32 v23, v53 :: v_dual_add_nc_u32 v24, 0x3a8, v52
	s_wait_dscnt 0x1
	global_store_b128 v[10:11], v[0:3], off
	s_wait_dscnt 0x0
	global_store_b128 v[8:9], v[4:7], off
	v_dual_mov_b32 v9, v53 :: v_dual_add_nc_u32 v8, 0x270, v52
	v_add_nc_u32_e32 v22, 0x30c, v52
	ds_load_b128 v[0:3], v34 offset:4992
	ds_load_b128 v[4:7], v34 offset:7488
	v_add_co_u32 v16, vcc_lo, v36, v12
	s_wait_alu 0xfffd
	v_add_co_ci_u32_e32 v17, vcc_lo, v37, v13, vcc_lo
	v_lshlrev_b64_e32 v[18:19], 4, v[14:15]
	v_lshlrev_b64_e32 v[20:21], 4, v[8:9]
	ds_load_b128 v[8:11], v34 offset:9984
	ds_load_b128 v[12:15], v34 offset:12480
	v_lshlrev_b64_e32 v[22:23], 4, v[22:23]
	v_mov_b32_e32 v25, v53
	v_add_co_u32 v18, vcc_lo, v36, v18
	s_wait_alu 0xfffd
	v_add_co_ci_u32_e32 v19, vcc_lo, v37, v19, vcc_lo
	v_add_co_u32 v20, vcc_lo, v36, v20
	s_wait_alu 0xfffd
	v_add_co_ci_u32_e32 v21, vcc_lo, v37, v21, vcc_lo
	v_add_co_u32 v22, vcc_lo, v36, v22
	s_wait_dscnt 0x3
	global_store_b128 v[16:17], v[0:3], off
	s_wait_dscnt 0x2
	global_store_b128 v[18:19], v[4:7], off
	v_dual_mov_b32 v3, v53 :: v_dual_add_nc_u32 v2, 0x444, v52
	s_wait_alu 0xfffd
	v_add_co_ci_u32_e32 v23, vcc_lo, v37, v23, vcc_lo
	v_lshlrev_b64_e32 v[0:1], 4, v[24:25]
	s_wait_dscnt 0x1
	global_store_b128 v[20:21], v[8:11], off
	s_wait_dscnt 0x0
	global_store_b128 v[22:23], v[12:15], off
	v_add_nc_u32_e32 v10, 0x4e0, v52
	v_lshlrev_b64_e32 v[8:9], 4, v[2:3]
	v_dual_mov_b32 v11, v53 :: v_dual_add_nc_u32 v16, 0x57c, v52
	v_add_co_u32 v24, vcc_lo, v36, v0
	s_wait_alu 0xfffd
	v_add_co_ci_u32_e32 v25, vcc_lo, v37, v1, vcc_lo
	s_delay_alu instid0(VALU_DEP_4)
	v_add_co_u32 v26, vcc_lo, v36, v8
	s_wait_alu 0xfffd
	v_add_co_ci_u32_e32 v27, vcc_lo, v37, v9, vcc_lo
	v_lshlrev_b64_e32 v[8:9], 4, v[10:11]
	v_dual_mov_b32 v17, v53 :: v_dual_add_nc_u32 v18, 0x618, v52
	v_dual_mov_b32 v19, v53 :: v_dual_add_nc_u32 v52, 0x6b4, v52
	ds_load_b128 v[0:3], v34 offset:14976
	ds_load_b128 v[4:7], v34 offset:17472
	v_add_co_u32 v28, vcc_lo, v36, v8
	s_wait_alu 0xfffd
	v_add_co_ci_u32_e32 v29, vcc_lo, v37, v9, vcc_lo
	ds_load_b128 v[8:11], v34 offset:19968
	ds_load_b128 v[12:15], v34 offset:22464
	v_lshlrev_b64_e32 v[30:31], 4, v[16:17]
	v_lshlrev_b64_e32 v[32:33], 4, v[18:19]
	ds_load_b128 v[16:19], v34 offset:24960
	ds_load_b128 v[20:23], v34 offset:27456
	v_lshlrev_b64_e32 v[34:35], 4, v[52:53]
	v_add_co_u32 v30, vcc_lo, v36, v30
	s_wait_alu 0xfffd
	v_add_co_ci_u32_e32 v31, vcc_lo, v37, v31, vcc_lo
	v_add_co_u32 v32, vcc_lo, v36, v32
	s_wait_alu 0xfffd
	v_add_co_ci_u32_e32 v33, vcc_lo, v37, v33, vcc_lo
	;; [unrolled: 3-line block ×3, first 2 shown]
	s_wait_dscnt 0x5
	global_store_b128 v[24:25], v[0:3], off
	s_wait_dscnt 0x4
	global_store_b128 v[26:27], v[4:7], off
	;; [unrolled: 2-line block ×6, first 2 shown]
.LBB0_21:
	s_nop 0
	s_sendmsg sendmsg(MSG_DEALLOC_VGPRS)
	s_endpgm
	.section	.rodata,"a",@progbits
	.p2align	6, 0x0
	.amdhsa_kernel fft_rtc_back_len1872_factors_13_3_4_6_2_wgs_156_tpt_156_halfLds_dp_ip_CI_unitstride_sbrr_C2R_dirReg
		.amdhsa_group_segment_fixed_size 0
		.amdhsa_private_segment_fixed_size 0
		.amdhsa_kernarg_size 88
		.amdhsa_user_sgpr_count 2
		.amdhsa_user_sgpr_dispatch_ptr 0
		.amdhsa_user_sgpr_queue_ptr 0
		.amdhsa_user_sgpr_kernarg_segment_ptr 1
		.amdhsa_user_sgpr_dispatch_id 0
		.amdhsa_user_sgpr_private_segment_size 0
		.amdhsa_wavefront_size32 1
		.amdhsa_uses_dynamic_stack 0
		.amdhsa_enable_private_segment 0
		.amdhsa_system_sgpr_workgroup_id_x 1
		.amdhsa_system_sgpr_workgroup_id_y 0
		.amdhsa_system_sgpr_workgroup_id_z 0
		.amdhsa_system_sgpr_workgroup_info 0
		.amdhsa_system_vgpr_workitem_id 0
		.amdhsa_next_free_vgpr 211
		.amdhsa_next_free_sgpr 38
		.amdhsa_reserve_vcc 1
		.amdhsa_float_round_mode_32 0
		.amdhsa_float_round_mode_16_64 0
		.amdhsa_float_denorm_mode_32 3
		.amdhsa_float_denorm_mode_16_64 3
		.amdhsa_fp16_overflow 0
		.amdhsa_workgroup_processor_mode 1
		.amdhsa_memory_ordered 1
		.amdhsa_forward_progress 0
		.amdhsa_round_robin_scheduling 0
		.amdhsa_exception_fp_ieee_invalid_op 0
		.amdhsa_exception_fp_denorm_src 0
		.amdhsa_exception_fp_ieee_div_zero 0
		.amdhsa_exception_fp_ieee_overflow 0
		.amdhsa_exception_fp_ieee_underflow 0
		.amdhsa_exception_fp_ieee_inexact 0
		.amdhsa_exception_int_div_zero 0
	.end_amdhsa_kernel
	.text
.Lfunc_end0:
	.size	fft_rtc_back_len1872_factors_13_3_4_6_2_wgs_156_tpt_156_halfLds_dp_ip_CI_unitstride_sbrr_C2R_dirReg, .Lfunc_end0-fft_rtc_back_len1872_factors_13_3_4_6_2_wgs_156_tpt_156_halfLds_dp_ip_CI_unitstride_sbrr_C2R_dirReg
                                        ; -- End function
	.section	.AMDGPU.csdata,"",@progbits
; Kernel info:
; codeLenInByte = 11108
; NumSgprs: 40
; NumVgprs: 211
; ScratchSize: 0
; MemoryBound: 0
; FloatMode: 240
; IeeeMode: 1
; LDSByteSize: 0 bytes/workgroup (compile time only)
; SGPRBlocks: 4
; VGPRBlocks: 26
; NumSGPRsForWavesPerEU: 40
; NumVGPRsForWavesPerEU: 211
; Occupancy: 7
; WaveLimiterHint : 1
; COMPUTE_PGM_RSRC2:SCRATCH_EN: 0
; COMPUTE_PGM_RSRC2:USER_SGPR: 2
; COMPUTE_PGM_RSRC2:TRAP_HANDLER: 0
; COMPUTE_PGM_RSRC2:TGID_X_EN: 1
; COMPUTE_PGM_RSRC2:TGID_Y_EN: 0
; COMPUTE_PGM_RSRC2:TGID_Z_EN: 0
; COMPUTE_PGM_RSRC2:TIDIG_COMP_CNT: 0
	.text
	.p2alignl 7, 3214868480
	.fill 96, 4, 3214868480
	.type	__hip_cuid_629b12264e159821,@object ; @__hip_cuid_629b12264e159821
	.section	.bss,"aw",@nobits
	.globl	__hip_cuid_629b12264e159821
__hip_cuid_629b12264e159821:
	.byte	0                               ; 0x0
	.size	__hip_cuid_629b12264e159821, 1

	.ident	"AMD clang version 19.0.0git (https://github.com/RadeonOpenCompute/llvm-project roc-6.4.0 25133 c7fe45cf4b819c5991fe208aaa96edf142730f1d)"
	.section	".note.GNU-stack","",@progbits
	.addrsig
	.addrsig_sym __hip_cuid_629b12264e159821
	.amdgpu_metadata
---
amdhsa.kernels:
  - .args:
      - .actual_access:  read_only
        .address_space:  global
        .offset:         0
        .size:           8
        .value_kind:     global_buffer
      - .offset:         8
        .size:           8
        .value_kind:     by_value
      - .actual_access:  read_only
        .address_space:  global
        .offset:         16
        .size:           8
        .value_kind:     global_buffer
      - .actual_access:  read_only
        .address_space:  global
        .offset:         24
        .size:           8
        .value_kind:     global_buffer
      - .offset:         32
        .size:           8
        .value_kind:     by_value
      - .actual_access:  read_only
        .address_space:  global
        .offset:         40
        .size:           8
        .value_kind:     global_buffer
      - .actual_access:  read_only
        .address_space:  global
        .offset:         48
        .size:           8
        .value_kind:     global_buffer
      - .offset:         56
        .size:           4
        .value_kind:     by_value
      - .actual_access:  read_only
        .address_space:  global
        .offset:         64
        .size:           8
        .value_kind:     global_buffer
      - .actual_access:  read_only
        .address_space:  global
        .offset:         72
        .size:           8
        .value_kind:     global_buffer
      - .address_space:  global
        .offset:         80
        .size:           8
        .value_kind:     global_buffer
    .group_segment_fixed_size: 0
    .kernarg_segment_align: 8
    .kernarg_segment_size: 88
    .language:       OpenCL C
    .language_version:
      - 2
      - 0
    .max_flat_workgroup_size: 156
    .name:           fft_rtc_back_len1872_factors_13_3_4_6_2_wgs_156_tpt_156_halfLds_dp_ip_CI_unitstride_sbrr_C2R_dirReg
    .private_segment_fixed_size: 0
    .sgpr_count:     40
    .sgpr_spill_count: 0
    .symbol:         fft_rtc_back_len1872_factors_13_3_4_6_2_wgs_156_tpt_156_halfLds_dp_ip_CI_unitstride_sbrr_C2R_dirReg.kd
    .uniform_work_group_size: 1
    .uses_dynamic_stack: false
    .vgpr_count:     211
    .vgpr_spill_count: 0
    .wavefront_size: 32
    .workgroup_processor_mode: 1
amdhsa.target:   amdgcn-amd-amdhsa--gfx1201
amdhsa.version:
  - 1
  - 2
...

	.end_amdgpu_metadata
